;; amdgpu-corpus repo=ROCm/rocFFT kind=compiled arch=gfx906 opt=O3
	.text
	.amdgcn_target "amdgcn-amd-amdhsa--gfx906"
	.amdhsa_code_object_version 6
	.protected	fft_rtc_back_len578_factors_17_17_2_wgs_238_tpt_34_halfLds_dp_op_CI_CI_unitstride_sbrr_dirReg ; -- Begin function fft_rtc_back_len578_factors_17_17_2_wgs_238_tpt_34_halfLds_dp_op_CI_CI_unitstride_sbrr_dirReg
	.globl	fft_rtc_back_len578_factors_17_17_2_wgs_238_tpt_34_halfLds_dp_op_CI_CI_unitstride_sbrr_dirReg
	.p2align	8
	.type	fft_rtc_back_len578_factors_17_17_2_wgs_238_tpt_34_halfLds_dp_op_CI_CI_unitstride_sbrr_dirReg,@function
fft_rtc_back_len578_factors_17_17_2_wgs_238_tpt_34_halfLds_dp_op_CI_CI_unitstride_sbrr_dirReg: ; @fft_rtc_back_len578_factors_17_17_2_wgs_238_tpt_34_halfLds_dp_op_CI_CI_unitstride_sbrr_dirReg
; %bb.0:
	v_mul_u32_u24_e32 v1, 0x788, v0
	s_load_dwordx4 s[12:15], s[4:5], 0x58
	s_load_dwordx4 s[8:11], s[4:5], 0x0
	;; [unrolled: 1-line block ×3, first 2 shown]
	v_lshrrev_b32_e32 v1, 16, v1
	v_mad_u64_u32 v[74:75], s[0:1], s6, 7, v[1:2]
	v_mov_b32_e32 v4, 0
	v_mov_b32_e32 v1, 0
	s_waitcnt lgkmcnt(0)
	v_cmp_lt_u64_e64 s[0:1], s[10:11], 2
	v_mov_b32_e32 v5, 0
	v_mov_b32_e32 v75, v1
	;; [unrolled: 1-line block ×4, first 2 shown]
	s_and_b64 vcc, exec, s[0:1]
	v_mov_b32_e32 v70, v4
	v_mov_b32_e32 v73, v75
	s_cbranch_vccnz .LBB0_8
; %bb.1:
	s_load_dwordx2 s[0:1], s[4:5], 0x10
	s_add_u32 s2, s18, 8
	s_addc_u32 s3, s19, 0
	s_add_u32 s6, s16, 8
	v_mov_b32_e32 v4, 0
	s_addc_u32 s7, s17, 0
	v_mov_b32_e32 v5, 0
	s_waitcnt lgkmcnt(0)
	s_add_u32 s20, s0, 8
	v_mov_b32_e32 v71, v5
	v_mov_b32_e32 v6, v74
	s_addc_u32 s21, s1, 0
	s_mov_b64 s[22:23], 1
	v_mov_b32_e32 v70, v4
	v_mov_b32_e32 v7, v75
.LBB0_2:                                ; =>This Inner Loop Header: Depth=1
	s_load_dwordx2 s[24:25], s[20:21], 0x0
                                        ; implicit-def: $vgpr72_vgpr73
	s_waitcnt lgkmcnt(0)
	v_or_b32_e32 v2, s25, v7
	v_cmp_ne_u64_e32 vcc, 0, v[1:2]
	s_and_saveexec_b64 s[0:1], vcc
	s_xor_b64 s[26:27], exec, s[0:1]
	s_cbranch_execz .LBB0_4
; %bb.3:                                ;   in Loop: Header=BB0_2 Depth=1
	v_cvt_f32_u32_e32 v2, s24
	v_cvt_f32_u32_e32 v3, s25
	s_sub_u32 s0, 0, s24
	s_subb_u32 s1, 0, s25
	v_mac_f32_e32 v2, 0x4f800000, v3
	v_rcp_f32_e32 v2, v2
	v_mul_f32_e32 v2, 0x5f7ffffc, v2
	v_mul_f32_e32 v3, 0x2f800000, v2
	v_trunc_f32_e32 v3, v3
	v_mac_f32_e32 v2, 0xcf800000, v3
	v_cvt_u32_f32_e32 v3, v3
	v_cvt_u32_f32_e32 v2, v2
	v_mul_lo_u32 v8, s0, v3
	v_mul_hi_u32 v9, s0, v2
	v_mul_lo_u32 v11, s1, v2
	v_mul_lo_u32 v10, s0, v2
	v_add_u32_e32 v8, v9, v8
	v_add_u32_e32 v8, v8, v11
	v_mul_hi_u32 v9, v2, v10
	v_mul_lo_u32 v11, v2, v8
	v_mul_hi_u32 v13, v2, v8
	v_mul_hi_u32 v12, v3, v10
	v_mul_lo_u32 v10, v3, v10
	v_mul_hi_u32 v14, v3, v8
	v_add_co_u32_e32 v9, vcc, v9, v11
	v_addc_co_u32_e32 v11, vcc, 0, v13, vcc
	v_mul_lo_u32 v8, v3, v8
	v_add_co_u32_e32 v9, vcc, v9, v10
	v_addc_co_u32_e32 v9, vcc, v11, v12, vcc
	v_addc_co_u32_e32 v10, vcc, 0, v14, vcc
	v_add_co_u32_e32 v8, vcc, v9, v8
	v_addc_co_u32_e32 v9, vcc, 0, v10, vcc
	v_add_co_u32_e32 v2, vcc, v2, v8
	v_addc_co_u32_e32 v3, vcc, v3, v9, vcc
	v_mul_lo_u32 v8, s0, v3
	v_mul_hi_u32 v9, s0, v2
	v_mul_lo_u32 v10, s1, v2
	v_mul_lo_u32 v11, s0, v2
	v_add_u32_e32 v8, v9, v8
	v_add_u32_e32 v8, v8, v10
	v_mul_lo_u32 v12, v2, v8
	v_mul_hi_u32 v13, v2, v11
	v_mul_hi_u32 v14, v2, v8
	;; [unrolled: 1-line block ×3, first 2 shown]
	v_mul_lo_u32 v11, v3, v11
	v_mul_hi_u32 v9, v3, v8
	v_add_co_u32_e32 v12, vcc, v13, v12
	v_addc_co_u32_e32 v13, vcc, 0, v14, vcc
	v_mul_lo_u32 v8, v3, v8
	v_add_co_u32_e32 v11, vcc, v12, v11
	v_addc_co_u32_e32 v10, vcc, v13, v10, vcc
	v_addc_co_u32_e32 v9, vcc, 0, v9, vcc
	v_add_co_u32_e32 v8, vcc, v10, v8
	v_addc_co_u32_e32 v9, vcc, 0, v9, vcc
	v_add_co_u32_e32 v8, vcc, v2, v8
	v_addc_co_u32_e32 v9, vcc, v3, v9, vcc
	v_mad_u64_u32 v[2:3], s[0:1], v6, v9, 0
	v_mul_hi_u32 v10, v6, v8
	v_add_co_u32_e32 v10, vcc, v10, v2
	v_addc_co_u32_e32 v11, vcc, 0, v3, vcc
	v_mad_u64_u32 v[2:3], s[0:1], v7, v8, 0
	v_mad_u64_u32 v[8:9], s[0:1], v7, v9, 0
	v_add_co_u32_e32 v2, vcc, v10, v2
	v_addc_co_u32_e32 v2, vcc, v11, v3, vcc
	v_addc_co_u32_e32 v3, vcc, 0, v9, vcc
	v_add_co_u32_e32 v8, vcc, v2, v8
	v_addc_co_u32_e32 v9, vcc, 0, v3, vcc
	v_mul_lo_u32 v10, s25, v8
	v_mul_lo_u32 v11, s24, v9
	v_mad_u64_u32 v[2:3], s[0:1], s24, v8, 0
	v_add3_u32 v3, v3, v11, v10
	v_sub_u32_e32 v10, v7, v3
	v_mov_b32_e32 v11, s25
	v_sub_co_u32_e32 v2, vcc, v6, v2
	v_subb_co_u32_e64 v10, s[0:1], v10, v11, vcc
	v_subrev_co_u32_e64 v11, s[0:1], s24, v2
	v_subbrev_co_u32_e64 v10, s[0:1], 0, v10, s[0:1]
	v_cmp_le_u32_e64 s[0:1], s25, v10
	v_cndmask_b32_e64 v12, 0, -1, s[0:1]
	v_cmp_le_u32_e64 s[0:1], s24, v11
	v_cndmask_b32_e64 v11, 0, -1, s[0:1]
	v_cmp_eq_u32_e64 s[0:1], s25, v10
	v_cndmask_b32_e64 v10, v12, v11, s[0:1]
	v_add_co_u32_e64 v11, s[0:1], 2, v8
	v_addc_co_u32_e64 v12, s[0:1], 0, v9, s[0:1]
	v_add_co_u32_e64 v13, s[0:1], 1, v8
	v_addc_co_u32_e64 v14, s[0:1], 0, v9, s[0:1]
	v_subb_co_u32_e32 v3, vcc, v7, v3, vcc
	v_cmp_ne_u32_e64 s[0:1], 0, v10
	v_cmp_le_u32_e32 vcc, s25, v3
	v_cndmask_b32_e64 v10, v14, v12, s[0:1]
	v_cndmask_b32_e64 v12, 0, -1, vcc
	v_cmp_le_u32_e32 vcc, s24, v2
	v_cndmask_b32_e64 v2, 0, -1, vcc
	v_cmp_eq_u32_e32 vcc, s25, v3
	v_cndmask_b32_e32 v2, v12, v2, vcc
	v_cmp_ne_u32_e32 vcc, 0, v2
	v_cndmask_b32_e64 v2, v13, v11, s[0:1]
	v_cndmask_b32_e32 v73, v9, v10, vcc
	v_cndmask_b32_e32 v72, v8, v2, vcc
.LBB0_4:                                ;   in Loop: Header=BB0_2 Depth=1
	s_andn2_saveexec_b64 s[0:1], s[26:27]
	s_cbranch_execz .LBB0_6
; %bb.5:                                ;   in Loop: Header=BB0_2 Depth=1
	v_cvt_f32_u32_e32 v2, s24
	s_sub_i32 s26, 0, s24
	v_mov_b32_e32 v73, v1
	v_rcp_iflag_f32_e32 v2, v2
	v_mul_f32_e32 v2, 0x4f7ffffe, v2
	v_cvt_u32_f32_e32 v2, v2
	v_mul_lo_u32 v3, s26, v2
	v_mul_hi_u32 v3, v2, v3
	v_add_u32_e32 v2, v2, v3
	v_mul_hi_u32 v2, v6, v2
	v_mul_lo_u32 v3, v2, s24
	v_add_u32_e32 v8, 1, v2
	v_sub_u32_e32 v3, v6, v3
	v_subrev_u32_e32 v9, s24, v3
	v_cmp_le_u32_e32 vcc, s24, v3
	v_cndmask_b32_e32 v3, v3, v9, vcc
	v_cndmask_b32_e32 v2, v2, v8, vcc
	v_add_u32_e32 v8, 1, v2
	v_cmp_le_u32_e32 vcc, s24, v3
	v_cndmask_b32_e32 v72, v2, v8, vcc
.LBB0_6:                                ;   in Loop: Header=BB0_2 Depth=1
	s_or_b64 exec, exec, s[0:1]
	v_mul_lo_u32 v8, v73, s24
	v_mul_lo_u32 v9, v72, s25
	v_mad_u64_u32 v[2:3], s[0:1], v72, s24, 0
	s_load_dwordx2 s[0:1], s[6:7], 0x0
	s_load_dwordx2 s[24:25], s[2:3], 0x0
	v_add3_u32 v3, v3, v9, v8
	v_sub_co_u32_e32 v2, vcc, v6, v2
	v_subb_co_u32_e32 v3, vcc, v7, v3, vcc
	s_waitcnt lgkmcnt(0)
	v_mul_lo_u32 v6, s0, v3
	v_mul_lo_u32 v7, s1, v2
	v_mad_u64_u32 v[4:5], s[0:1], s0, v2, v[4:5]
	v_mul_lo_u32 v3, s24, v3
	v_mul_lo_u32 v8, s25, v2
	v_mad_u64_u32 v[70:71], s[0:1], s24, v2, v[70:71]
	s_add_u32 s22, s22, 1
	s_addc_u32 s23, s23, 0
	s_add_u32 s2, s2, 8
	v_add3_u32 v71, v8, v71, v3
	s_addc_u32 s3, s3, 0
	v_mov_b32_e32 v2, s10
	s_add_u32 s6, s6, 8
	v_mov_b32_e32 v3, s11
	s_addc_u32 s7, s7, 0
	v_cmp_ge_u64_e32 vcc, s[22:23], v[2:3]
	s_add_u32 s20, s20, 8
	v_add3_u32 v5, v7, v5, v6
	s_addc_u32 s21, s21, 0
	s_cbranch_vccnz .LBB0_8
; %bb.7:                                ;   in Loop: Header=BB0_2 Depth=1
	v_mov_b32_e32 v6, v72
	v_mov_b32_e32 v7, v73
	s_branch .LBB0_2
.LBB0_8:
	s_load_dwordx2 s[4:5], s[4:5], 0x28
	s_lshl_b64 s[6:7], s[10:11], 3
	s_add_u32 s2, s18, s6
	s_addc_u32 s3, s19, s7
                                        ; implicit-def: $vgpr68
	s_waitcnt lgkmcnt(0)
	v_cmp_gt_u64_e64 s[0:1], s[4:5], v[72:73]
	v_cmp_le_u64_e32 vcc, s[4:5], v[72:73]
	s_and_saveexec_b64 s[4:5], vcc
	s_xor_b64 s[4:5], exec, s[4:5]
; %bb.9:
	s_mov_b32 s10, 0x7878788
	v_mul_hi_u32 v1, v0, s10
                                        ; implicit-def: $vgpr4_vgpr5
	v_mul_u32_u24_e32 v1, 34, v1
	v_sub_u32_e32 v68, v0, v1
                                        ; implicit-def: $vgpr0
; %bb.10:
	s_or_saveexec_b64 s[4:5], s[4:5]
                                        ; implicit-def: $vgpr34_vgpr35
                                        ; implicit-def: $vgpr38_vgpr39
                                        ; implicit-def: $vgpr42_vgpr43
                                        ; implicit-def: $vgpr46_vgpr47
                                        ; implicit-def: $vgpr50_vgpr51
                                        ; implicit-def: $vgpr112
                                        ; implicit-def: $vgpr54_vgpr55
                                        ; implicit-def: $vgpr58_vgpr59
                                        ; implicit-def: $vgpr62_vgpr63
                                        ; implicit-def: $vgpr66_vgpr67
                                        ; implicit-def: $vgpr30_vgpr31
                                        ; implicit-def: $vgpr22_vgpr23
                                        ; implicit-def: $vgpr26_vgpr27
                                        ; implicit-def: $vgpr18_vgpr19
                                        ; implicit-def: $vgpr14_vgpr15
                                        ; implicit-def: $vgpr10_vgpr11
                                        ; implicit-def: $vgpr6_vgpr7
                                        ; implicit-def: $vgpr2_vgpr3
	s_xor_b64 exec, exec, s[4:5]
	s_cbranch_execz .LBB0_12
; %bb.11:
	s_add_u32 s6, s16, s6
	s_addc_u32 s7, s17, s7
	s_load_dwordx2 s[6:7], s[6:7], 0x0
	s_mov_b32 s10, 0x7878788
	v_mul_hi_u32 v3, v0, s10
	s_waitcnt lgkmcnt(0)
	v_mul_lo_u32 v6, s7, v72
	v_mul_lo_u32 v7, s6, v73
	v_mad_u64_u32 v[1:2], s[6:7], s6, v72, 0
	v_mul_u32_u24_e32 v3, 34, v3
	v_sub_u32_e32 v68, v0, v3
	v_add3_u32 v2, v2, v7, v6
	v_lshlrev_b64 v[0:1], 4, v[1:2]
	v_mov_b32_e32 v2, s13
	v_add_co_u32_e32 v3, vcc, s12, v0
	v_addc_co_u32_e32 v2, vcc, v2, v1, vcc
	v_lshlrev_b64 v[0:1], 4, v[4:5]
	s_movk_i32 s6, 0x1000
	v_add_co_u32_e32 v0, vcc, v3, v0
	v_addc_co_u32_e32 v1, vcc, v2, v1, vcc
	v_lshlrev_b32_e32 v2, 4, v68
	v_add_co_u32_e32 v32, vcc, v0, v2
	v_addc_co_u32_e32 v33, vcc, 0, v1, vcc
	v_add_co_u32_e32 v75, vcc, s6, v32
	v_addc_co_u32_e32 v76, vcc, 0, v33, vcc
	v_add_co_u32_e32 v77, vcc, 0x2000, v32
	global_load_dwordx4 v[0:3], v[32:33], off
	global_load_dwordx4 v[4:7], v[32:33], off offset:544
	global_load_dwordx4 v[8:11], v[32:33], off offset:1088
	;; [unrolled: 1-line block ×7, first 2 shown]
	v_addc_co_u32_e32 v78, vcc, 0, v33, vcc
	global_load_dwordx4 v[64:67], v[75:76], off offset:256
	global_load_dwordx4 v[60:63], v[75:76], off offset:800
	;; [unrolled: 1-line block ×9, first 2 shown]
	v_mov_b32_e32 v112, v68
.LBB0_12:
	s_or_b64 exec, exec, s[4:5]
	s_waitcnt vmcnt(15)
	v_add_f64 v[83:84], v[4:5], v[0:1]
	v_add_f64 v[85:86], v[6:7], v[2:3]
	s_waitcnt vmcnt(4)
	v_add_f64 v[99:100], v[48:49], v[24:25]
	v_add_f64 v[101:102], v[24:25], -v[48:49]
	v_add_f64 v[103:104], v[26:27], -v[50:51]
	v_add_f64 v[91:92], v[52:53], v[20:21]
	v_add_f64 v[89:90], v[54:55], v[22:23]
	v_add_f64 v[93:94], v[20:21], -v[52:53]
	v_add_f64 v[95:96], v[8:9], v[83:84]
	v_add_f64 v[97:98], v[10:11], v[85:86]
	s_waitcnt vmcnt(0)
	v_add_f64 v[119:120], v[32:33], v[4:5]
	s_mov_b32 s24, 0x5d8e7cdc
	s_mov_b32 s22, 0x2a9d6da3
	;; [unrolled: 1-line block ×5, first 2 shown]
	v_add_f64 v[107:108], v[12:13], v[95:96]
	v_add_f64 v[109:110], v[14:15], v[97:98]
	;; [unrolled: 1-line block ×3, first 2 shown]
	v_add_f64 v[95:96], v[22:23], -v[54:55]
	s_mov_b32 s16, 0x6c9a05f6
	s_mov_b32 s30, 0x4363dd80
	;; [unrolled: 1-line block ×4, first 2 shown]
	v_add_f64 v[113:114], v[16:17], v[107:108]
	v_add_f64 v[109:110], v[18:19], v[109:110]
	s_mov_b32 s23, 0xbfe58eea
	s_mov_b32 s7, 0xbfeca52d
	;; [unrolled: 1-line block ×6, first 2 shown]
	v_add_f64 v[24:25], v[24:25], v[113:114]
	v_add_f64 v[26:27], v[26:27], v[109:110]
	s_mov_b32 s39, 0xbfc7851a
	v_add_f64 v[85:86], v[56:57], v[28:29]
	v_add_f64 v[83:84], v[58:59], v[30:31]
	v_add_f64 v[87:88], v[28:29], -v[56:57]
	v_add_f64 v[105:106], v[44:45], v[16:17]
	v_add_f64 v[16:17], v[16:17], -v[44:45]
	v_add_f64 v[20:21], v[20:21], v[24:25]
	v_add_f64 v[22:23], v[22:23], v[26:27]
	v_add_f64 v[26:27], v[4:5], -v[32:33]
	v_add_f64 v[4:5], v[6:7], -v[34:35]
	v_add_f64 v[24:25], v[34:35], v[6:7]
	v_add_f64 v[6:7], v[30:31], -v[58:59]
	s_mov_b32 s34, 0x370991
	s_mov_b32 s26, 0x75d4884
	v_add_f64 v[20:21], v[28:29], v[20:21]
	v_add_f64 v[22:23], v[30:31], v[22:23]
	s_mov_b32 s18, 0x2b2883cd
	v_mul_f64 v[28:29], v[4:5], s[24:25]
	v_mul_f64 v[30:31], v[4:5], s[22:23]
	s_mov_b32 s12, 0x3259b75e
	s_mov_b32 s20, 0xc61f0d01
	;; [unrolled: 1-line block ×3, first 2 shown]
	v_add_f64 v[20:21], v[64:65], v[20:21]
	v_add_f64 v[22:23], v[66:67], v[22:23]
	s_mov_b32 s36, 0x910ea3b9
	s_mov_b32 s40, 0x7faef3
	;; [unrolled: 1-line block ×6, first 2 shown]
	v_add_f64 v[20:21], v[60:61], v[20:21]
	v_add_f64 v[22:23], v[62:63], v[22:23]
	s_mov_b32 s21, 0xbfd183b1
	s_mov_b32 s29, 0xbfe348c8
	;; [unrolled: 1-line block ×4, first 2 shown]
	v_add_f64 v[77:78], v[60:61], v[64:65]
	v_add_f64 v[75:76], v[62:63], v[66:67]
	v_add_f64 v[20:21], v[56:57], v[20:21]
	v_add_f64 v[22:23], v[58:59], v[22:23]
	v_mul_f64 v[56:57], v[4:5], s[30:31]
	v_add_f64 v[79:80], v[64:65], -v[60:61]
	v_add_f64 v[81:82], v[66:67], -v[62:63]
	v_add_f64 v[107:108], v[46:47], v[18:19]
	v_add_f64 v[18:19], v[18:19], -v[46:47]
	v_add_f64 v[115:116], v[40:41], v[12:13]
	v_add_f64 v[20:21], v[52:53], v[20:21]
	;; [unrolled: 1-line block ×3, first 2 shown]
	v_mul_f64 v[52:53], v[4:5], s[10:11]
	v_mul_f64 v[54:55], v[4:5], s[16:17]
	v_add_f64 v[117:118], v[42:43], v[14:15]
	v_add_f64 v[12:13], v[12:13], -v[40:41]
	v_add_f64 v[14:15], v[14:15], -v[42:43]
	v_add_f64 v[109:110], v[36:37], v[8:9]
	v_add_f64 v[20:21], v[48:49], v[20:21]
	v_add_f64 v[22:23], v[50:51], v[22:23]
	v_mul_f64 v[48:49], v[4:5], s[6:7]
	v_mul_f64 v[50:51], v[4:5], s[4:5]
	v_add_f64 v[113:114], v[38:39], v[10:11]
	v_add_f64 v[8:9], v[8:9], -v[36:37]
	v_add_f64 v[10:11], v[10:11], -v[38:39]
	v_mul_f64 v[58:59], v[26:27], s[22:23]
	v_add_f64 v[20:21], v[44:45], v[20:21]
	v_add_f64 v[22:23], v[46:47], v[22:23]
	v_mul_f64 v[44:45], v[4:5], s[38:39]
	v_mul_f64 v[46:47], v[26:27], s[24:25]
	;; [unrolled: 1-line block ×3, first 2 shown]
	v_fma_f64 v[62:63], v[119:120], s[34:35], v[28:29]
	v_fma_f64 v[28:29], v[119:120], s[34:35], -v[28:29]
	v_fma_f64 v[64:65], v[119:120], s[36:37], v[56:57]
	v_add_f64 v[4:5], v[40:41], v[20:21]
	v_add_f64 v[20:21], v[42:43], v[22:23]
	v_fma_f64 v[22:23], v[119:120], s[26:27], v[30:31]
	v_fma_f64 v[30:31], v[119:120], s[26:27], -v[30:31]
	v_fma_f64 v[40:41], v[119:120], s[18:19], v[48:49]
	v_fma_f64 v[42:43], v[119:120], s[18:19], -v[48:49]
	;; [unrolled: 2-line block ×3, first 2 shown]
	v_add_f64 v[4:5], v[36:37], v[4:5]
	v_add_f64 v[20:21], v[38:39], v[20:21]
	v_fma_f64 v[36:37], v[119:120], s[20:21], v[52:53]
	v_fma_f64 v[38:39], v[119:120], s[20:21], -v[52:53]
	v_fma_f64 v[52:53], v[119:120], s[28:29], v[54:55]
	v_fma_f64 v[54:55], v[119:120], s[28:29], -v[54:55]
	v_fma_f64 v[56:57], v[119:120], s[36:37], -v[56:57]
	v_mul_f64 v[121:122], v[26:27], s[10:11]
	v_add_f64 v[4:5], v[32:33], v[4:5]
	v_add_f64 v[20:21], v[34:35], v[20:21]
	v_fma_f64 v[32:33], v[119:120], s[40:41], v[44:45]
	v_fma_f64 v[34:35], v[119:120], s[40:41], -v[44:45]
	v_mul_f64 v[119:120], v[26:27], s[4:5]
	v_mul_f64 v[125:126], v[26:27], s[16:17]
	;; [unrolled: 1-line block ×4, first 2 shown]
	v_fma_f64 v[66:67], v[24:25], s[26:27], -v[58:59]
	v_fma_f64 v[123:124], v[24:25], s[18:19], -v[60:61]
	;; [unrolled: 1-line block ×8, first 2 shown]
	v_fma_f64 v[46:47], v[24:25], s[34:35], v[46:47]
	v_fma_f64 v[58:59], v[24:25], s[26:27], v[58:59]
	;; [unrolled: 1-line block ×8, first 2 shown]
	v_add_f64 v[26:27], v[0:1], v[62:63]
	v_add_f64 v[28:29], v[0:1], v[28:29]
	;; [unrolled: 1-line block ×23, first 2 shown]
	v_mul_f64 v[0:1], v[10:11], s[22:23]
	v_mul_f64 v[137:138], v[8:9], s[22:23]
	v_add_f64 v[44:45], v[2:3], v[44:45]
	v_mul_f64 v[139:140], v[10:11], s[4:5]
	v_mul_f64 v[143:144], v[8:9], s[4:5]
	v_add_f64 v[46:47], v[2:3], v[46:47]
	v_add_f64 v[58:59], v[2:3], v[58:59]
	;; [unrolled: 1-line block ×3, first 2 shown]
	v_fma_f64 v[141:142], v[109:110], s[26:27], v[0:1]
	v_fma_f64 v[145:146], v[113:114], s[26:27], -v[137:138]
	v_add_f64 v[119:120], v[2:3], v[119:120]
	v_add_f64 v[121:122], v[2:3], v[121:122]
	;; [unrolled: 1-line block ×4, first 2 shown]
	v_fma_f64 v[147:148], v[109:110], s[26:27], -v[0:1]
	v_add_f64 v[1:2], v[2:3], v[24:25]
	v_fma_f64 v[24:25], v[113:114], s[26:27], v[137:138]
	v_fma_f64 v[137:138], v[109:110], s[12:13], v[139:140]
	v_add_f64 v[26:27], v[141:142], v[26:27]
	v_fma_f64 v[141:142], v[113:114], s[12:13], -v[143:144]
	v_add_f64 v[44:45], v[145:146], v[44:45]
	v_mul_f64 v[145:146], v[10:11], s[16:17]
	v_add_f64 v[28:29], v[147:148], v[28:29]
	v_mul_f64 v[147:148], v[8:9], s[16:17]
	v_mul_f64 v[151:152], v[8:9], s[38:39]
	v_add_f64 v[22:23], v[137:138], v[22:23]
	v_fma_f64 v[137:138], v[109:110], s[12:13], -v[139:140]
	v_add_f64 v[62:63], v[141:142], v[62:63]
	v_fma_f64 v[139:140], v[113:114], s[12:13], v[143:144]
	v_fma_f64 v[141:142], v[109:110], s[28:29], v[145:146]
	s_mov_b32 s45, 0x3fe0d888
	s_mov_b32 s44, s30
	v_add_f64 v[24:25], v[24:25], v[46:47]
	v_mul_f64 v[46:47], v[10:11], s[38:39]
	v_fma_f64 v[143:144], v[113:114], s[28:29], -v[147:148]
	v_fma_f64 v[145:146], v[109:110], s[28:29], -v[145:146]
	v_fma_f64 v[147:148], v[113:114], s[28:29], v[147:148]
	v_add_f64 v[30:31], v[137:138], v[30:31]
	v_add_f64 v[58:59], v[139:140], v[58:59]
	;; [unrolled: 1-line block ×3, first 2 shown]
	v_fma_f64 v[137:138], v[113:114], s[40:41], -v[151:152]
	v_mul_f64 v[139:140], v[10:11], s[44:45]
	v_mul_f64 v[141:142], v[8:9], s[44:45]
	s_mov_b32 s43, 0x3feec746
	s_mov_b32 s42, s10
	v_fma_f64 v[149:150], v[109:110], s[40:41], v[46:47]
	v_add_f64 v[66:67], v[143:144], v[66:67]
	v_add_f64 v[42:43], v[145:146], v[42:43]
	;; [unrolled: 1-line block ×3, first 2 shown]
	v_mul_f64 v[143:144], v[10:11], s[42:43]
	v_add_f64 v[123:124], v[137:138], v[123:124]
	v_fma_f64 v[46:47], v[109:110], s[40:41], -v[46:47]
	v_fma_f64 v[137:138], v[113:114], s[40:41], v[151:152]
	v_fma_f64 v[145:146], v[109:110], s[36:37], v[139:140]
	v_fma_f64 v[147:148], v[113:114], s[36:37], -v[141:142]
	v_fma_f64 v[139:140], v[109:110], s[36:37], -v[139:140]
	v_fma_f64 v[141:142], v[113:114], s[36:37], v[141:142]
	v_mul_f64 v[151:152], v[8:9], s[42:43]
	s_mov_b32 s47, 0x3feca52d
	s_mov_b32 s46, s6
	s_mov_b32 s49, 0x3fd71e95
	s_mov_b32 s48, s24
	v_add_f64 v[48:49], v[149:150], v[48:49]
	v_fma_f64 v[149:150], v[109:110], s[20:21], v[143:144]
	v_add_f64 v[46:47], v[46:47], v[50:51]
	v_add_f64 v[50:51], v[137:138], v[119:120]
	;; [unrolled: 1-line block ×5, first 2 shown]
	v_fma_f64 v[129:130], v[113:114], s[20:21], -v[151:152]
	v_fma_f64 v[137:138], v[109:110], s[20:21], -v[143:144]
	v_fma_f64 v[139:140], v[113:114], s[20:21], v[151:152]
	v_mul_f64 v[141:142], v[10:11], s[46:47]
	v_mul_f64 v[10:11], v[10:11], s[48:49]
	;; [unrolled: 1-line block ×3, first 2 shown]
	v_add_f64 v[36:37], v[145:146], v[36:37]
	v_mul_f64 v[8:9], v[8:9], s[48:49]
	v_add_f64 v[129:130], v[129:130], v[131:132]
	v_add_f64 v[54:55], v[137:138], v[54:55]
	;; [unrolled: 1-line block ×3, first 2 shown]
	v_fma_f64 v[131:132], v[109:110], s[18:19], v[141:142]
	v_fma_f64 v[137:138], v[109:110], s[18:19], -v[141:142]
	v_fma_f64 v[139:140], v[109:110], s[34:35], v[10:11]
	v_fma_f64 v[141:142], v[113:114], s[18:19], -v[143:144]
	v_mul_f64 v[145:146], v[14:15], s[6:7]
	v_fma_f64 v[10:11], v[109:110], s[34:35], -v[10:11]
	v_mul_f64 v[109:110], v[12:13], s[6:7]
	v_fma_f64 v[143:144], v[113:114], s[18:19], v[143:144]
	v_fma_f64 v[147:148], v[113:114], s[34:35], -v[8:9]
	v_fma_f64 v[8:9], v[113:114], s[34:35], v[8:9]
	v_add_f64 v[64:65], v[131:132], v[64:65]
	v_add_f64 v[113:114], v[141:142], v[133:134]
	v_fma_f64 v[131:132], v[115:116], s[18:19], v[145:146]
	s_mov_b32 s51, 0x3fc7851a
	v_fma_f64 v[133:134], v[117:118], s[18:19], -v[109:110]
	s_mov_b32 s50, s38
	v_add_f64 v[32:33], v[139:140], v[32:33]
	v_add_f64 v[10:11], v[10:11], v[34:35]
	;; [unrolled: 1-line block ×3, first 2 shown]
	v_mul_f64 v[139:140], v[12:13], s[50:51]
	v_add_f64 v[8:9], v[131:132], v[26:27]
	v_mul_f64 v[26:27], v[14:15], s[16:17]
	v_add_f64 v[34:35], v[133:134], v[44:45]
	v_mul_f64 v[44:45], v[12:13], s[16:17]
	v_fma_f64 v[131:132], v[115:116], s[18:19], -v[145:146]
	v_add_f64 v[56:57], v[137:138], v[56:57]
	v_fma_f64 v[109:110], v[117:118], s[18:19], v[109:110]
	v_mul_f64 v[133:134], v[14:15], s[50:51]
	s_mov_b32 s53, 0x3fe58eea
	v_fma_f64 v[137:138], v[115:116], s[28:29], v[26:27]
	v_fma_f64 v[26:27], v[115:116], s[28:29], -v[26:27]
	v_fma_f64 v[141:142], v[117:118], s[28:29], -v[44:45]
	v_add_f64 v[28:29], v[131:132], v[28:29]
	v_fma_f64 v[44:45], v[117:118], s[28:29], v[44:45]
	v_fma_f64 v[131:132], v[117:118], s[40:41], -v[139:140]
	v_add_f64 v[24:25], v[109:110], v[24:25]
	v_fma_f64 v[109:110], v[115:116], s[40:41], v[133:134]
	v_add_f64 v[22:23], v[137:138], v[22:23]
	v_mul_f64 v[137:138], v[14:15], s[42:43]
	v_add_f64 v[62:63], v[141:142], v[62:63]
	v_mul_f64 v[141:142], v[12:13], s[42:43]
	v_add_f64 v[26:27], v[26:27], v[30:31]
	v_add_f64 v[30:31], v[44:45], v[58:59]
	v_fma_f64 v[44:45], v[115:116], s[40:41], -v[133:134]
	v_add_f64 v[58:59], v[131:132], v[66:67]
	v_fma_f64 v[66:67], v[117:118], s[40:41], v[139:140]
	s_mov_b32 s52, s22
	v_add_f64 v[40:41], v[109:110], v[40:41]
	v_fma_f64 v[109:110], v[115:116], s[20:21], v[137:138]
	v_fma_f64 v[131:132], v[117:118], s[20:21], -v[141:142]
	v_mul_f64 v[133:134], v[14:15], s[52:53]
	v_add_f64 v[42:43], v[44:45], v[42:43]
	v_mul_f64 v[44:45], v[12:13], s[52:53]
	v_add_f64 v[60:61], v[66:67], v[60:61]
	v_fma_f64 v[66:67], v[115:116], s[20:21], -v[137:138]
	v_mul_f64 v[137:138], v[14:15], s[24:25]
	v_add_f64 v[52:53], v[149:150], v[52:53]
	v_add_f64 v[48:49], v[109:110], v[48:49]
	;; [unrolled: 1-line block ×3, first 2 shown]
	v_fma_f64 v[123:124], v[117:118], s[20:21], v[141:142]
	v_fma_f64 v[131:132], v[115:116], s[26:27], v[133:134]
	v_fma_f64 v[139:140], v[117:118], s[26:27], -v[44:45]
	v_fma_f64 v[133:134], v[115:116], s[26:27], -v[133:134]
	v_mul_f64 v[141:142], v[12:13], s[24:25]
	v_add_f64 v[46:47], v[66:67], v[46:47]
	v_fma_f64 v[44:45], v[117:118], s[26:27], v[44:45]
	v_fma_f64 v[66:67], v[115:116], s[34:35], v[137:138]
	v_add_f64 v[50:51], v[123:124], v[50:51]
	v_add_f64 v[36:37], v[131:132], v[36:37]
	v_fma_f64 v[131:132], v[115:116], s[34:35], -v[137:138]
	v_add_f64 v[38:39], v[133:134], v[38:39]
	v_fma_f64 v[123:124], v[117:118], s[34:35], -v[141:142]
	v_mul_f64 v[133:134], v[14:15], s[4:5]
	v_add_f64 v[44:45], v[44:45], v[121:122]
	v_fma_f64 v[121:122], v[117:118], s[34:35], v[141:142]
	v_add_f64 v[52:53], v[66:67], v[52:53]
	v_mul_f64 v[14:15], v[14:15], s[30:31]
	v_mul_f64 v[66:67], v[12:13], s[4:5]
	v_add_f64 v[127:128], v[143:144], v[127:128]
	v_add_f64 v[123:124], v[123:124], v[129:130]
	;; [unrolled: 1-line block ×3, first 2 shown]
	v_mul_f64 v[12:13], v[12:13], s[30:31]
	v_add_f64 v[121:122], v[121:122], v[125:126]
	v_fma_f64 v[125:126], v[115:116], s[12:13], v[133:134]
	v_fma_f64 v[129:130], v[115:116], s[12:13], -v[133:134]
	v_fma_f64 v[131:132], v[115:116], s[36:37], v[14:15]
	v_fma_f64 v[133:134], v[117:118], s[12:13], -v[66:67]
	v_fma_f64 v[66:67], v[117:118], s[12:13], v[66:67]
	v_mul_f64 v[137:138], v[16:17], s[4:5]
	v_fma_f64 v[14:15], v[115:116], s[36:37], -v[14:15]
	v_fma_f64 v[115:116], v[117:118], s[36:37], -v[12:13]
	v_fma_f64 v[12:13], v[117:118], s[36:37], v[12:13]
	v_mul_f64 v[117:118], v[18:19], s[4:5]
	v_add_f64 v[56:57], v[129:130], v[56:57]
	v_add_f64 v[32:33], v[131:132], v[32:33]
	;; [unrolled: 1-line block ×3, first 2 shown]
	v_fma_f64 v[127:128], v[107:108], s[12:13], -v[137:138]
	v_mul_f64 v[129:130], v[18:19], s[38:39]
	v_mul_f64 v[131:132], v[16:17], s[38:39]
	v_add_f64 v[64:65], v[125:126], v[64:65]
	v_fma_f64 v[125:126], v[105:106], s[12:13], v[117:118]
	v_fma_f64 v[117:118], v[105:106], s[12:13], -v[117:118]
	v_add_f64 v[10:11], v[14:15], v[10:11]
	v_add_f64 v[1:2], v[12:13], v[1:2]
	;; [unrolled: 1-line block ×3, first 2 shown]
	v_fma_f64 v[14:15], v[105:106], s[40:41], v[129:130]
	v_fma_f64 v[34:35], v[107:108], s[40:41], -v[131:132]
	v_add_f64 v[113:114], v[133:134], v[113:114]
	v_fma_f64 v[133:134], v[107:108], s[12:13], v[137:138]
	v_add_f64 v[8:9], v[125:126], v[8:9]
	v_add_f64 v[28:29], v[117:118], v[28:29]
	v_mul_f64 v[117:118], v[18:19], s[42:43]
	v_mul_f64 v[125:126], v[16:17], s[42:43]
	v_fma_f64 v[127:128], v[105:106], s[40:41], -v[129:130]
	v_fma_f64 v[129:130], v[107:108], s[40:41], v[131:132]
	v_add_f64 v[14:15], v[14:15], v[22:23]
	v_add_f64 v[22:23], v[34:35], v[62:63]
	v_mul_f64 v[62:63], v[16:17], s[48:49]
	v_add_f64 v[24:25], v[133:134], v[24:25]
	v_mul_f64 v[34:35], v[18:19], s[48:49]
	v_fma_f64 v[131:132], v[105:106], s[20:21], v[117:118]
	v_fma_f64 v[133:134], v[107:108], s[20:21], -v[125:126]
	v_add_f64 v[30:31], v[129:130], v[30:31]
	v_add_f64 v[26:27], v[127:128], v[26:27]
	v_fma_f64 v[117:118], v[105:106], s[20:21], -v[117:118]
	v_fma_f64 v[129:130], v[107:108], s[34:35], -v[62:63]
	v_fma_f64 v[125:126], v[107:108], s[20:21], v[125:126]
	v_fma_f64 v[127:128], v[105:106], s[34:35], v[34:35]
	v_add_f64 v[40:41], v[131:132], v[40:41]
	v_add_f64 v[58:59], v[133:134], v[58:59]
	v_mul_f64 v[131:132], v[18:19], s[6:7]
	v_mul_f64 v[133:134], v[16:17], s[6:7]
	v_fma_f64 v[34:35], v[105:106], s[34:35], -v[34:35]
	v_add_f64 v[109:110], v[129:130], v[109:110]
	v_fma_f64 v[62:63], v[107:108], s[34:35], v[62:63]
	v_mul_f64 v[129:130], v[18:19], s[30:31]
	v_add_f64 v[119:120], v[139:140], v[119:120]
	v_add_f64 v[42:43], v[117:118], v[42:43]
	;; [unrolled: 1-line block ×4, first 2 shown]
	v_fma_f64 v[117:118], v[105:106], s[18:19], v[131:132]
	v_fma_f64 v[125:126], v[107:108], s[18:19], -v[133:134]
	v_fma_f64 v[127:128], v[105:106], s[18:19], -v[131:132]
	v_fma_f64 v[131:132], v[107:108], s[18:19], v[133:134]
	v_mul_f64 v[133:134], v[16:17], s[30:31]
	v_add_f64 v[34:35], v[34:35], v[46:47]
	v_add_f64 v[46:47], v[62:63], v[50:51]
	v_fma_f64 v[62:63], v[105:106], s[36:37], v[129:130]
	s_mov_b32 s55, 0x3fe9895b
	s_mov_b32 s54, s16
	v_add_f64 v[135:136], v[147:148], v[135:136]
	v_add_f64 v[36:37], v[117:118], v[36:37]
	;; [unrolled: 1-line block ×4, first 2 shown]
	v_fma_f64 v[117:118], v[107:108], s[36:37], -v[133:134]
	v_fma_f64 v[119:120], v[105:106], s[36:37], -v[129:130]
	v_fma_f64 v[125:126], v[107:108], s[36:37], v[133:134]
	v_mul_f64 v[127:128], v[18:19], s[54:55]
	v_add_f64 v[52:53], v[62:63], v[52:53]
	v_mul_f64 v[18:19], v[18:19], s[52:53]
	v_mul_f64 v[62:63], v[16:17], s[54:55]
	;; [unrolled: 1-line block ×3, first 2 shown]
	v_add_f64 v[115:116], v[115:116], v[135:136]
	v_add_f64 v[117:118], v[117:118], v[123:124]
	;; [unrolled: 1-line block ×4, first 2 shown]
	v_fma_f64 v[121:122], v[105:106], s[28:29], v[127:128]
	v_fma_f64 v[123:124], v[105:106], s[28:29], -v[127:128]
	v_fma_f64 v[125:126], v[105:106], s[26:27], v[18:19]
	v_fma_f64 v[127:128], v[107:108], s[28:29], -v[62:63]
	v_fma_f64 v[18:19], v[105:106], s[26:27], -v[18:19]
	v_fma_f64 v[62:63], v[107:108], s[28:29], v[62:63]
	v_fma_f64 v[105:106], v[107:108], s[26:27], -v[16:17]
	v_fma_f64 v[16:17], v[107:108], s[26:27], v[16:17]
	v_mul_f64 v[107:108], v[103:104], s[10:11]
	v_mul_f64 v[129:130], v[101:102], s[10:11]
	v_add_f64 v[64:65], v[121:122], v[64:65]
	v_add_f64 v[56:57], v[123:124], v[56:57]
	v_mul_f64 v[121:122], v[103:104], s[44:45]
	v_add_f64 v[62:63], v[62:63], v[66:67]
	v_add_f64 v[66:67], v[105:106], v[115:116]
	v_mul_f64 v[123:124], v[101:102], s[44:45]
	v_fma_f64 v[105:106], v[99:100], s[20:21], v[107:108]
	v_fma_f64 v[115:116], v[97:98], s[20:21], -v[129:130]
	v_fma_f64 v[107:108], v[99:100], s[20:21], -v[107:108]
	v_add_f64 v[10:11], v[18:19], v[10:11]
	v_fma_f64 v[18:19], v[97:98], s[20:21], v[129:130]
	v_add_f64 v[1:2], v[16:17], v[1:2]
	v_fma_f64 v[16:17], v[99:100], s[36:37], v[121:122]
	s_mov_b32 s57, 0x3fefdd0d
	v_add_f64 v[8:9], v[105:106], v[8:9]
	v_add_f64 v[12:13], v[115:116], v[12:13]
	v_fma_f64 v[105:106], v[97:98], s[36:37], -v[123:124]
	v_add_f64 v[28:29], v[107:108], v[28:29]
	v_mul_f64 v[107:108], v[103:104], s[52:53]
	v_add_f64 v[18:19], v[18:19], v[24:25]
	v_fma_f64 v[24:25], v[99:100], s[36:37], -v[121:122]
	v_mul_f64 v[115:116], v[101:102], s[52:53]
	v_fma_f64 v[121:122], v[97:98], s[36:37], v[123:124]
	v_add_f64 v[14:15], v[16:17], v[14:15]
	v_add_f64 v[16:17], v[105:106], v[22:23]
	v_mul_f64 v[22:23], v[103:104], s[6:7]
	v_fma_f64 v[105:106], v[99:100], s[26:27], v[107:108]
	v_mul_f64 v[123:124], v[101:102], s[6:7]
	v_add_f64 v[24:25], v[24:25], v[26:27]
	v_fma_f64 v[26:27], v[97:98], s[26:27], -v[115:116]
	v_fma_f64 v[115:116], v[97:98], s[26:27], v[115:116]
	s_mov_b32 s56, s4
	v_add_f64 v[32:33], v[125:126], v[32:33]
	v_add_f64 v[30:31], v[121:122], v[30:31]
	v_fma_f64 v[107:108], v[99:100], s[26:27], -v[107:108]
	v_fma_f64 v[121:122], v[99:100], s[18:19], v[22:23]
	v_add_f64 v[40:41], v[105:106], v[40:41]
	v_fma_f64 v[105:106], v[97:98], s[18:19], -v[123:124]
	v_fma_f64 v[22:23], v[99:100], s[18:19], -v[22:23]
	v_mul_f64 v[125:126], v[103:104], s[38:39]
	v_add_f64 v[26:27], v[26:27], v[58:59]
	v_add_f64 v[58:59], v[115:116], v[60:61]
	v_mul_f64 v[60:61], v[101:102], s[38:39]
	v_mul_f64 v[115:116], v[103:104], s[56:57]
	v_add_f64 v[44:45], v[131:132], v[44:45]
	v_add_f64 v[42:43], v[107:108], v[42:43]
	;; [unrolled: 1-line block ×4, first 2 shown]
	v_fma_f64 v[107:108], v[97:98], s[18:19], v[123:124]
	v_fma_f64 v[109:110], v[99:100], s[40:41], v[125:126]
	v_fma_f64 v[121:122], v[97:98], s[40:41], -v[60:61]
	v_fma_f64 v[123:124], v[99:100], s[40:41], -v[125:126]
	v_mul_f64 v[125:126], v[101:102], s[56:57]
	v_add_f64 v[22:23], v[22:23], v[34:35]
	v_fma_f64 v[34:35], v[97:98], s[40:41], v[60:61]
	v_fma_f64 v[60:61], v[99:100], s[12:13], v[115:116]
	v_add_f64 v[46:47], v[107:108], v[46:47]
	v_add_f64 v[36:37], v[109:110], v[36:37]
	v_fma_f64 v[109:110], v[99:100], s[12:13], -v[115:116]
	v_mul_f64 v[115:116], v[103:104], s[24:25]
	v_fma_f64 v[107:108], v[97:98], s[12:13], -v[125:126]
	v_add_f64 v[38:39], v[123:124], v[38:39]
	v_add_f64 v[34:35], v[34:35], v[44:45]
	v_fma_f64 v[44:45], v[97:98], s[12:13], v[125:126]
	v_add_f64 v[52:53], v[60:61], v[52:53]
	v_mul_f64 v[60:61], v[103:104], s[16:17]
	v_mul_f64 v[103:104], v[101:102], s[24:25]
	;; [unrolled: 1-line block ×3, first 2 shown]
	v_add_f64 v[107:108], v[107:108], v[117:118]
	v_add_f64 v[54:55], v[109:110], v[54:55]
	v_fma_f64 v[109:110], v[99:100], s[34:35], v[115:116]
	v_add_f64 v[44:45], v[44:45], v[119:120]
	v_fma_f64 v[115:116], v[99:100], s[34:35], -v[115:116]
	v_fma_f64 v[117:118], v[99:100], s[28:29], v[60:61]
	v_fma_f64 v[119:120], v[97:98], s[34:35], -v[103:104]
	v_fma_f64 v[60:61], v[99:100], s[28:29], -v[60:61]
	v_fma_f64 v[99:100], v[97:98], s[34:35], v[103:104]
	v_fma_f64 v[103:104], v[97:98], s[28:29], -v[101:102]
	v_fma_f64 v[97:98], v[97:98], s[28:29], v[101:102]
	v_mul_f64 v[101:102], v[95:96], s[16:17]
	v_add_f64 v[64:65], v[109:110], v[64:65]
	v_mul_f64 v[109:110], v[93:94], s[16:17]
	v_add_f64 v[32:33], v[117:118], v[32:33]
	;; [unrolled: 2-line block ×3, first 2 shown]
	v_add_f64 v[66:67], v[103:104], v[66:67]
	v_mul_f64 v[103:104], v[95:96], s[42:43]
	v_fma_f64 v[99:100], v[91:92], s[28:29], v[101:102]
	v_add_f64 v[56:57], v[115:116], v[56:57]
	v_fma_f64 v[115:116], v[89:90], s[28:29], -v[109:110]
	v_fma_f64 v[101:102], v[91:92], s[28:29], -v[101:102]
	v_add_f64 v[10:11], v[60:61], v[10:11]
	v_fma_f64 v[60:61], v[89:90], s[28:29], v[109:110]
	v_add_f64 v[1:2], v[97:98], v[1:2]
	v_fma_f64 v[97:98], v[91:92], s[20:21], v[103:104]
	v_add_f64 v[8:9], v[99:100], v[8:9]
	v_fma_f64 v[99:100], v[89:90], s[20:21], -v[117:118]
	v_add_f64 v[12:13], v[115:116], v[12:13]
	v_add_f64 v[28:29], v[101:102], v[28:29]
	v_mul_f64 v[101:102], v[95:96], s[24:25]
	v_add_f64 v[18:19], v[60:61], v[18:19]
	v_mul_f64 v[60:61], v[93:94], s[24:25]
	v_fma_f64 v[103:104], v[91:92], s[20:21], -v[103:104]
	v_add_f64 v[14:15], v[97:98], v[14:15]
	v_fma_f64 v[97:98], v[89:90], s[20:21], v[117:118]
	v_add_f64 v[16:17], v[99:100], v[16:17]
	v_mul_f64 v[99:100], v[95:96], s[30:31]
	v_mul_f64 v[115:116], v[93:94], s[30:31]
	v_fma_f64 v[109:110], v[91:92], s[34:35], v[101:102]
	v_fma_f64 v[117:118], v[89:90], s[34:35], -v[60:61]
	v_add_f64 v[24:25], v[103:104], v[24:25]
	v_fma_f64 v[101:102], v[91:92], s[34:35], -v[101:102]
	v_add_f64 v[30:31], v[97:98], v[30:31]
	v_fma_f64 v[60:61], v[89:90], s[34:35], v[60:61]
	v_fma_f64 v[97:98], v[91:92], s[36:37], v[99:100]
	v_fma_f64 v[103:104], v[89:90], s[36:37], -v[115:116]
	v_add_f64 v[40:41], v[109:110], v[40:41]
	v_mul_f64 v[109:110], v[95:96], s[56:57]
	v_add_f64 v[26:27], v[117:118], v[26:27]
	v_add_f64 v[42:43], v[101:102], v[42:43]
	v_mul_f64 v[101:102], v[93:94], s[56:57]
	v_add_f64 v[58:59], v[60:61], v[58:59]
	v_add_f64 v[48:49], v[97:98], v[48:49]
	v_fma_f64 v[60:61], v[91:92], s[36:37], -v[99:100]
	v_add_f64 v[97:98], v[103:104], v[105:106]
	v_fma_f64 v[99:100], v[89:90], s[36:37], v[115:116]
	v_mul_f64 v[105:106], v[95:96], s[22:23]
	v_fma_f64 v[103:104], v[91:92], s[12:13], v[109:110]
	v_mul_f64 v[117:118], v[93:94], s[22:23]
	v_fma_f64 v[115:116], v[89:90], s[12:13], -v[101:102]
	v_fma_f64 v[109:110], v[91:92], s[12:13], -v[109:110]
	v_add_f64 v[22:23], v[60:61], v[22:23]
	v_fma_f64 v[60:61], v[89:90], s[12:13], v[101:102]
	v_add_f64 v[46:47], v[99:100], v[46:47]
	v_fma_f64 v[99:100], v[91:92], s[26:27], v[105:106]
	v_add_f64 v[36:37], v[103:104], v[36:37]
	v_fma_f64 v[101:102], v[89:90], s[26:27], -v[117:118]
	v_fma_f64 v[103:104], v[91:92], s[26:27], -v[105:106]
	v_mul_f64 v[105:106], v[95:96], s[38:39]
	v_mul_f64 v[95:96], v[95:96], s[46:47]
	v_add_f64 v[34:35], v[60:61], v[34:35]
	v_fma_f64 v[60:61], v[89:90], s[26:27], v[117:118]
	v_add_f64 v[52:53], v[99:100], v[52:53]
	v_mul_f64 v[99:100], v[93:94], s[38:39]
	v_mul_f64 v[93:94], v[93:94], s[46:47]
	v_add_f64 v[101:102], v[101:102], v[107:108]
	v_add_f64 v[54:55], v[103:104], v[54:55]
	v_fma_f64 v[103:104], v[91:92], s[40:41], -v[105:106]
	v_add_f64 v[113:114], v[127:128], v[113:114]
	v_add_f64 v[44:45], v[60:61], v[44:45]
	v_fma_f64 v[60:61], v[91:92], s[40:41], v[105:106]
	v_fma_f64 v[105:106], v[91:92], s[18:19], v[95:96]
	v_fma_f64 v[107:108], v[89:90], s[40:41], -v[99:100]
	v_fma_f64 v[91:92], v[91:92], s[18:19], -v[95:96]
	v_fma_f64 v[95:96], v[89:90], s[40:41], v[99:100]
	v_fma_f64 v[99:100], v[89:90], s[18:19], -v[93:94]
	v_fma_f64 v[89:90], v[89:90], s[18:19], v[93:94]
	v_mul_f64 v[93:94], v[6:7], s[30:31]
	v_add_f64 v[60:61], v[60:61], v[64:65]
	v_mul_f64 v[64:65], v[87:88], s[30:31]
	v_add_f64 v[32:33], v[105:106], v[32:33]
	;; [unrolled: 2-line block ×3, first 2 shown]
	v_add_f64 v[66:67], v[99:100], v[66:67]
	v_mul_f64 v[99:100], v[6:7], s[46:47]
	v_add_f64 v[62:63], v[95:96], v[62:63]
	v_fma_f64 v[95:96], v[85:86], s[36:37], v[93:94]
	v_fma_f64 v[103:104], v[83:84], s[36:37], -v[64:65]
	v_fma_f64 v[93:94], v[85:86], s[36:37], -v[93:94]
	v_add_f64 v[10:11], v[91:92], v[10:11]
	v_fma_f64 v[64:65], v[83:84], s[36:37], v[64:65]
	v_add_f64 v[1:2], v[89:90], v[1:2]
	v_fma_f64 v[89:90], v[85:86], s[18:19], v[99:100]
	v_fma_f64 v[91:92], v[83:84], s[18:19], -v[105:106]
	v_add_f64 v[8:9], v[95:96], v[8:9]
	v_add_f64 v[12:13], v[103:104], v[12:13]
	;; [unrolled: 1-line block ×3, first 2 shown]
	v_mul_f64 v[93:94], v[6:7], s[4:5]
	v_add_f64 v[18:19], v[64:65], v[18:19]
	v_mul_f64 v[64:65], v[87:88], s[4:5]
	v_fma_f64 v[95:96], v[85:86], s[18:19], -v[99:100]
	v_add_f64 v[14:15], v[89:90], v[14:15]
	v_fma_f64 v[89:90], v[83:84], s[18:19], v[105:106]
	v_add_f64 v[16:17], v[91:92], v[16:17]
	v_mul_f64 v[91:92], v[6:7], s[54:55]
	v_mul_f64 v[103:104], v[87:88], s[54:55]
	v_fma_f64 v[99:100], v[85:86], s[12:13], v[93:94]
	v_fma_f64 v[105:106], v[83:84], s[12:13], -v[64:65]
	v_add_f64 v[24:25], v[95:96], v[24:25]
	v_fma_f64 v[93:94], v[85:86], s[12:13], -v[93:94]
	v_add_f64 v[30:31], v[89:90], v[30:31]
	v_fma_f64 v[64:65], v[83:84], s[12:13], v[64:65]
	v_fma_f64 v[89:90], v[85:86], s[28:29], v[91:92]
	v_fma_f64 v[95:96], v[83:84], s[28:29], -v[103:104]
	v_add_f64 v[40:41], v[99:100], v[40:41]
	v_mul_f64 v[99:100], v[6:7], s[24:25]
	v_add_f64 v[26:27], v[105:106], v[26:27]
	v_add_f64 v[42:43], v[93:94], v[42:43]
	v_mul_f64 v[93:94], v[87:88], s[24:25]
	v_add_f64 v[58:59], v[64:65], v[58:59]
	v_add_f64 v[48:49], v[89:90], v[48:49]
	v_fma_f64 v[64:65], v[85:86], s[28:29], -v[91:92]
	v_add_f64 v[89:90], v[95:96], v[97:98]
	v_fma_f64 v[91:92], v[83:84], s[28:29], v[103:104]
	v_mul_f64 v[97:98], v[6:7], s[38:39]
	v_fma_f64 v[95:96], v[85:86], s[34:35], v[99:100]
	v_mul_f64 v[105:106], v[87:88], s[38:39]
	v_add_f64 v[38:39], v[109:110], v[38:39]
	v_fma_f64 v[103:104], v[83:84], s[34:35], -v[93:94]
	v_add_f64 v[22:23], v[64:65], v[22:23]
	v_fma_f64 v[64:65], v[83:84], s[34:35], v[93:94]
	v_add_f64 v[46:47], v[91:92], v[46:47]
	v_fma_f64 v[91:92], v[85:86], s[40:41], v[97:98]
	v_fma_f64 v[99:100], v[85:86], s[34:35], -v[99:100]
	v_add_f64 v[36:37], v[95:96], v[36:37]
	v_fma_f64 v[93:94], v[83:84], s[40:41], -v[105:106]
	v_fma_f64 v[95:96], v[85:86], s[40:41], -v[97:98]
	v_mul_f64 v[97:98], v[6:7], s[52:53]
	v_add_f64 v[34:35], v[64:65], v[34:35]
	v_fma_f64 v[64:65], v[83:84], s[40:41], v[105:106]
	v_add_f64 v[52:53], v[91:92], v[52:53]
	v_mul_f64 v[6:7], v[6:7], s[10:11]
	v_mul_f64 v[91:92], v[87:88], s[52:53]
	;; [unrolled: 1-line block ×3, first 2 shown]
	v_add_f64 v[113:114], v[119:120], v[113:114]
	v_add_f64 v[38:39], v[99:100], v[38:39]
	;; [unrolled: 1-line block ×5, first 2 shown]
	v_fma_f64 v[64:65], v[85:86], s[26:27], v[97:98]
	v_fma_f64 v[95:96], v[85:86], s[26:27], -v[97:98]
	v_fma_f64 v[97:98], v[85:86], s[20:21], v[6:7]
	v_fma_f64 v[99:100], v[83:84], s[26:27], -v[91:92]
	v_fma_f64 v[6:7], v[85:86], s[20:21], -v[6:7]
	v_fma_f64 v[85:86], v[83:84], s[26:27], v[91:92]
	v_fma_f64 v[91:92], v[83:84], s[20:21], -v[87:88]
	v_fma_f64 v[83:84], v[83:84], s[20:21], v[87:88]
	v_mul_f64 v[87:88], v[81:82], s[38:39]
	v_mul_f64 v[101:102], v[79:80], s[38:39]
	v_add_f64 v[107:108], v[107:108], v[113:114]
	v_add_f64 v[56:57], v[95:96], v[56:57]
	;; [unrolled: 1-line block ×5, first 2 shown]
	v_mul_f64 v[95:96], v[81:82], s[48:49]
	v_fma_f64 v[85:86], v[77:78], s[40:41], v[87:88]
	v_fma_f64 v[91:92], v[75:76], s[40:41], -v[101:102]
	v_mul_f64 v[97:98], v[79:80], s[48:49]
	v_add_f64 v[60:61], v[64:65], v[60:61]
	v_add_f64 v[64:65], v[99:100], v[107:108]
	;; [unrolled: 1-line block ×4, first 2 shown]
	v_fma_f64 v[10:11], v[77:78], s[40:41], -v[87:88]
	v_fma_f64 v[83:84], v[75:76], s[40:41], v[101:102]
	v_add_f64 v[8:9], v[85:86], v[8:9]
	v_add_f64 v[86:87], v[91:92], v[12:13]
	v_fma_f64 v[12:13], v[77:78], s[34:35], v[95:96]
	v_fma_f64 v[91:92], v[75:76], s[34:35], -v[97:98]
	v_mul_f64 v[99:100], v[81:82], s[30:31]
	v_mul_f64 v[101:102], v[79:80], s[30:31]
	v_add_f64 v[50:51], v[121:122], v[50:51]
	v_add_f64 v[10:11], v[10:11], v[28:29]
	v_add_f64 v[28:29], v[83:84], v[18:19]
	v_fma_f64 v[18:19], v[77:78], s[34:35], -v[95:96]
	v_fma_f64 v[83:84], v[75:76], s[34:35], v[97:98]
	v_add_f64 v[12:13], v[12:13], v[14:15]
	v_add_f64 v[91:92], v[91:92], v[16:17]
	v_fma_f64 v[14:15], v[77:78], s[36:37], v[99:100]
	v_fma_f64 v[16:17], v[75:76], s[36:37], -v[101:102]
	v_mul_f64 v[95:96], v[81:82], s[52:53]
	v_mul_f64 v[97:98], v[79:80], s[52:53]
	v_add_f64 v[50:51], v[115:116], v[50:51]
	v_add_f64 v[18:19], v[18:19], v[24:25]
	v_add_f64 v[24:25], v[83:84], v[30:31]
	;; [unrolled: 11-line block ×3, first 2 shown]
	v_fma_f64 v[58:59], v[77:78], s[26:27], -v[95:96]
	v_fma_f64 v[83:84], v[75:76], s[26:27], v[97:98]
	v_add_f64 v[16:17], v[16:17], v[48:49]
	v_add_f64 v[40:41], v[40:41], v[89:90]
	v_fma_f64 v[48:49], v[77:78], s[28:29], v[99:100]
	v_fma_f64 v[88:89], v[75:76], s[28:29], -v[101:102]
	v_mul_f64 v[95:96], v[81:82], s[46:47]
	v_mul_f64 v[97:98], v[79:80], s[46:47]
	v_add_f64 v[22:23], v[58:59], v[22:23]
	v_add_f64 v[58:59], v[83:84], v[46:47]
	v_fma_f64 v[46:47], v[77:78], s[28:29], -v[99:100]
	v_fma_f64 v[83:84], v[75:76], s[28:29], v[101:102]
	v_add_f64 v[36:37], v[48:49], v[36:37]
	v_add_f64 v[48:49], v[88:89], v[50:51]
	v_fma_f64 v[50:51], v[77:78], s[18:19], v[95:96]
	v_fma_f64 v[88:89], v[75:76], s[18:19], -v[97:98]
	v_mul_f64 v[99:100], v[81:82], s[10:11]
	v_mul_f64 v[101:102], v[79:80], s[10:11]
	s_mov_b32 s33, 0x24924925
	v_mul_hi_u32 v69, v74, s33
	v_add_f64 v[38:39], v[46:47], v[38:39]
	v_add_f64 v[34:35], v[83:84], v[34:35]
	v_fma_f64 v[46:47], v[77:78], s[18:19], -v[95:96]
	v_sub_u32_e32 v111, v74, v69
	v_fma_f64 v[83:84], v[75:76], s[18:19], v[97:98]
	v_add_f64 v[50:51], v[50:51], v[52:53]
	v_add_f64 v[88:89], v[88:89], v[93:94]
	v_fma_f64 v[52:53], v[77:78], s[20:21], v[99:100]
	v_fma_f64 v[93:94], v[75:76], s[20:21], -v[101:102]
	v_mul_f64 v[81:82], v[81:82], s[56:57]
	v_mul_f64 v[79:80], v[79:80], s[56:57]
	v_lshrrev_b32_e32 v111, 1, v111
	v_add_u32_e32 v69, v111, v69
	v_lshrrev_b32_e32 v69, 2, v69
	v_mul_lo_u32 v69, v69, 7
	v_add_f64 v[46:47], v[46:47], v[54:55]
	v_add_f64 v[95:96], v[83:84], v[44:45]
	v_fma_f64 v[44:45], v[77:78], s[20:21], -v[99:100]
	v_sub_u32_e32 v0, v74, v69
	v_fma_f64 v[54:55], v[75:76], s[20:21], v[101:102]
	v_add_f64 v[52:53], v[52:53], v[60:61]
	v_add_f64 v[60:61], v[93:94], v[64:65]
	v_fma_f64 v[64:65], v[77:78], s[12:13], v[81:82]
	v_fma_f64 v[83:84], v[75:76], s[12:13], -v[79:80]
	v_fma_f64 v[77:78], v[77:78], s[12:13], -v[81:82]
	v_fma_f64 v[74:75], v[75:76], s[12:13], v[79:80]
	v_add_f64 v[44:45], v[44:45], v[56:57]
	v_add_f64 v[56:57], v[54:55], v[62:63]
	v_mul_u32_u24_e32 v0, 0x242, v0
	v_lshlrev_b32_e32 v115, 3, v0
	v_add_f64 v[32:33], v[64:65], v[32:33]
	v_add_f64 v[62:63], v[83:84], v[66:67]
	;; [unrolled: 1-line block ×4, first 2 shown]
	v_lshlrev_b32_e32 v1, 3, v68
	s_load_dwordx2 s[58:59], s[2:3], 0x0
	v_add_u32_e32 v0, 0, v115
	s_movk_i32 s2, 0x88
	v_add3_u32 v67, 0, v1, v115
	v_mad_u32_u24 v66, v68, s2, v0
	v_add_u32_e32 v69, v0, v1
	v_add_u32_e32 v114, 0x400, v67
	;; [unrolled: 1-line block ×4, first 2 shown]
	ds_write2_b64 v66, v[4:5], v[8:9] offset1:1
	ds_write2_b64 v66, v[12:13], v[14:15] offset0:2 offset1:3
	ds_write2_b64 v66, v[16:17], v[36:37] offset0:4 offset1:5
	;; [unrolled: 1-line block ×7, first 2 shown]
	ds_write_b64 v66, v[10:11] offset:128
	s_waitcnt lgkmcnt(0)
	s_barrier
	ds_read_b64 v[76:77], v69
	ds_read2_b64 v[44:47], v67 offset0:34 offset1:68
	ds_read2_b64 v[52:55], v67 offset0:102 offset1:136
	;; [unrolled: 1-line block ×8, first 2 shown]
	s_waitcnt lgkmcnt(0)
	s_barrier
	ds_write2_b64 v66, v[20:21], v[86:87] offset1:1
	ds_write2_b64 v66, v[91:92], v[26:27] offset0:2 offset1:3
	ds_write2_b64 v66, v[40:41], v[48:49] offset0:4 offset1:5
	;; [unrolled: 1-line block ×7, first 2 shown]
	ds_write_b64 v66, v[28:29] offset:128
	v_subrev_u32_e32 v56, 17, v68
	v_cmp_gt_u32_e32 vcc, 17, v68
	v_cndmask_b32_e32 v116, v56, v68, vcc
	v_lshlrev_b32_e32 v20, 4, v116
	v_mov_b32_e32 v21, 0
	v_lshlrev_b64 v[20:21], 4, v[20:21]
	v_mov_b32_e32 v22, s9
	v_add_co_u32_e64 v32, s[2:3], s8, v20
	v_addc_co_u32_e64 v33, s[2:3], v22, v21, s[2:3]
	s_waitcnt lgkmcnt(0)
	s_barrier
	global_load_dwordx4 v[57:60], v[32:33], off
	global_load_dwordx4 v[61:64], v[32:33], off offset:16
	global_load_dwordx4 v[78:81], v[32:33], off offset:32
	;; [unrolled: 1-line block ×14, first 2 shown]
	ds_read2_b64 v[86:89], v67 offset0:34 offset1:68
	global_load_dwordx4 v[32:35], v[32:33], off offset:160
	ds_read2_b64 v[125:128], v67 offset0:102 offset1:136
	ds_read2_b64 v[129:132], v67 offset0:170 offset1:204
	v_mov_b32_e32 v157, 0x908
	v_cmp_lt_u32_e64 s[2:3], 16, v68
	v_cndmask_b32_e64 v157, 0, v157, s[2:3]
	v_add_u32_e32 v161, 0, v157
	v_lshlrev_b32_e32 v116, 3, v116
	v_add3_u32 v115, v161, v116, v115
	s_waitcnt vmcnt(15) lgkmcnt(2)
	v_mul_f64 v[65:66], v[86:87], v[59:60]
	v_mul_f64 v[59:60], v[44:45], v[59:60]
	s_waitcnt vmcnt(13) lgkmcnt(1)
	v_mul_f64 v[133:134], v[125:126], v[80:81]
	v_mul_f64 v[74:75], v[88:89], v[63:64]
	;; [unrolled: 1-line block ×3, first 2 shown]
	v_fma_f64 v[92:93], v[44:45], v[57:58], v[65:66]
	v_mul_f64 v[44:45], v[52:53], v[80:81]
	v_fma_f64 v[94:95], v[86:87], v[57:58], -v[59:60]
	v_fma_f64 v[86:87], v[52:53], v[78:79], v[133:134]
	s_waitcnt vmcnt(12)
	v_mul_f64 v[52:53], v[54:55], v[98:99]
	v_fma_f64 v[90:91], v[46:47], v[61:62], v[74:75]
	v_mul_f64 v[57:58], v[127:128], v[98:99]
	s_waitcnt vmcnt(10) lgkmcnt(0)
	v_mul_f64 v[74:75], v[131:132], v[106:107]
	v_mul_f64 v[59:60], v[129:130], v[102:103]
	v_fma_f64 v[78:79], v[125:126], v[78:79], -v[44:45]
	ds_read2_b64 v[44:47], v114 offset0:110 offset1:144
	v_fma_f64 v[80:81], v[88:89], v[61:62], -v[63:64]
	v_fma_f64 v[65:66], v[127:128], v[96:97], -v[52:53]
	s_waitcnt vmcnt(9)
	v_mul_f64 v[88:89], v[16:17], v[110:111]
	v_fma_f64 v[63:64], v[54:55], v[96:97], v[57:58]
	s_waitcnt lgkmcnt(0)
	v_mul_f64 v[52:53], v[44:45], v[110:111]
	v_fma_f64 v[54:55], v[84:85], v[104:105], v[74:75]
	s_waitcnt vmcnt(8)
	v_mul_f64 v[74:75], v[14:15], v[119:120]
	v_add_f64 v[96:97], v[76:77], v[92:93]
	v_mul_f64 v[61:62], v[82:83], v[102:103]
	v_mul_f64 v[57:58], v[84:85], v[106:107]
	v_fma_f64 v[59:60], v[82:83], v[100:101], v[59:60]
	ds_read2_b64 v[82:85], v135 offset0:126 offset1:160
	v_fma_f64 v[52:53], v[16:17], v[108:109], v[52:53]
	s_waitcnt vmcnt(7)
	v_mul_f64 v[16:17], v[46:47], v[22:23]
	v_fma_f64 v[44:45], v[44:45], v[108:109], -v[88:89]
	ds_read2_b64 v[125:128], v113 offset0:50 offset1:84
	s_waitcnt lgkmcnt(1)
	v_mul_f64 v[88:89], v[84:85], v[119:120]
	v_fma_f64 v[74:75], v[84:85], v[117:118], -v[74:75]
	v_mul_f64 v[119:120], v[18:19], v[22:23]
	s_waitcnt vmcnt(6)
	v_mul_f64 v[22:23], v[12:13], v[123:124]
	v_fma_f64 v[61:62], v[129:130], v[100:101], -v[61:62]
	v_fma_f64 v[84:85], v[18:19], v[20:21], v[16:17]
	v_add_f64 v[18:19], v[96:97], v[90:91]
	v_mul_f64 v[96:97], v[82:83], v[123:124]
	v_fma_f64 v[108:109], v[14:15], v[117:118], v[88:89]
	v_add_f64 v[117:118], v[94:95], -v[74:75]
	ds_read2_b64 v[14:17], v113 offset0:186 offset1:220
	v_fma_f64 v[100:101], v[82:83], v[121:122], -v[22:23]
	s_waitcnt vmcnt(3)
	v_mul_f64 v[22:23], v[10:11], v[50:51]
	v_fma_f64 v[57:58], v[131:132], v[104:105], -v[57:58]
	v_add_f64 v[82:83], v[18:19], v[86:87]
	s_waitcnt lgkmcnt(1)
	v_mul_f64 v[98:99], v[125:126], v[26:27]
	v_add_f64 v[123:124], v[92:93], v[108:109]
	v_mul_f64 v[131:132], v[117:118], s[24:25]
	v_fma_f64 v[106:107], v[12:13], v[121:122], v[96:97]
	v_add_f64 v[121:122], v[80:81], -v[100:101]
	s_waitcnt lgkmcnt(0)
	v_mul_f64 v[12:13], v[16:17], v[50:51]
	v_fma_f64 v[102:103], v[16:17], v[48:49], -v[22:23]
	s_waitcnt vmcnt(2)
	v_mul_f64 v[22:23], v[8:9], v[42:43]
	v_add_f64 v[82:83], v[82:83], v[63:64]
	v_fma_f64 v[88:89], v[0:1], v[24:25], v[98:99]
	v_fma_f64 v[96:97], v[123:124], s[34:35], v[131:132]
	v_add_f64 v[98:99], v[90:91], v[106:107]
	v_mul_f64 v[110:111], v[121:122], s[22:23]
	v_fma_f64 v[104:105], v[10:11], v[48:49], v[12:13]
	v_add_f64 v[133:134], v[78:79], -v[102:103]
	v_mul_f64 v[10:11], v[14:15], v[42:43]
	v_fma_f64 v[50:51], v[14:15], v[40:41], -v[22:23]
	s_waitcnt vmcnt(1)
	v_mul_f64 v[12:13], v[6:7], v[38:39]
	v_add_f64 v[14:15], v[82:83], v[59:60]
	ds_read2_b64 v[16:19], v113 offset0:118 offset1:152
	v_add_f64 v[22:23], v[76:77], v[96:97]
	v_fma_f64 v[135:136], v[98:99], s[26:27], v[110:111]
	v_add_f64 v[82:83], v[86:87], v[104:105]
	v_mul_f64 v[96:97], v[133:134], s[6:7]
	v_fma_f64 v[48:49], v[8:9], v[40:41], v[10:11]
	v_add_f64 v[137:138], v[65:66], -v[50:51]
	s_waitcnt lgkmcnt(0)
	v_mul_f64 v[8:9], v[18:19], v[38:39]
	v_add_f64 v[10:11], v[14:15], v[54:55]
	v_fma_f64 v[42:43], v[18:19], v[36:37], -v[12:13]
	s_waitcnt vmcnt(0)
	v_mul_f64 v[12:13], v[4:5], v[34:35]
	v_add_f64 v[14:15], v[135:136], v[22:23]
	v_fma_f64 v[135:136], v[82:83], s[18:19], v[96:97]
	v_add_f64 v[18:19], v[63:64], v[48:49]
	v_mul_f64 v[22:23], v[137:138], s[4:5]
	v_fma_f64 v[40:41], v[6:7], v[36:37], v[8:9]
	v_add_f64 v[6:7], v[10:11], v[52:53]
	v_add_f64 v[139:140], v[61:62], -v[42:43]
	v_mul_f64 v[8:9], v[16:17], v[34:35]
	v_fma_f64 v[38:39], v[16:17], v[32:33], -v[12:13]
	v_mul_f64 v[10:11], v[2:3], v[30:31]
	v_mul_f64 v[129:130], v[127:128], v[30:31]
	v_add_f64 v[12:13], v[135:136], v[14:15]
	v_fma_f64 v[30:31], v[18:19], s[12:13], v[22:23]
	v_add_f64 v[14:15], v[59:60], v[40:41]
	v_add_f64 v[6:7], v[6:7], v[84:85]
	v_mul_f64 v[16:17], v[139:140], s[10:11]
	v_fma_f64 v[36:37], v[4:5], v[32:33], v[8:9]
	v_add_f64 v[135:136], v[57:58], -v[38:39]
	v_mul_f64 v[0:1], v[0:1], v[26:27]
	v_fma_f64 v[34:35], v[127:128], v[28:29], -v[10:11]
	v_fma_f64 v[32:33], v[2:3], v[28:29], v[129:130]
	v_add_f64 v[2:3], v[30:31], v[12:13]
	v_add_f64 v[4:5], v[6:7], v[88:89]
	v_fma_f64 v[6:7], v[14:15], s[20:21], v[16:17]
	v_add_f64 v[8:9], v[54:55], v[36:37]
	v_mul_f64 v[10:11], v[135:136], s[16:17]
	v_fma_f64 v[28:29], v[46:47], v[20:21], -v[119:120]
	v_add_f64 v[26:27], v[44:45], -v[34:35]
	v_fma_f64 v[30:31], v[125:126], v[24:25], -v[0:1]
	v_mul_f64 v[20:21], v[117:118], s[22:23]
	v_add_f64 v[0:1], v[4:5], v[32:33]
	v_add_f64 v[2:3], v[6:7], v[2:3]
	;; [unrolled: 1-line block ×3, first 2 shown]
	v_fma_f64 v[24:25], v[8:9], s[28:29], v[10:11]
	v_mul_f64 v[125:126], v[121:122], s[4:5]
	v_mul_f64 v[6:7], v[26:27], s[30:31]
	v_add_f64 v[12:13], v[28:29], -v[30:31]
	v_fma_f64 v[119:120], v[123:124], s[26:27], v[20:21]
	v_mul_f64 v[127:128], v[117:118], s[6:7]
	v_add_f64 v[46:47], v[0:1], v[36:37]
	v_add_f64 v[0:1], v[84:85], v[88:89]
	;; [unrolled: 1-line block ×3, first 2 shown]
	v_fma_f64 v[141:142], v[98:99], s[12:13], v[125:126]
	v_fma_f64 v[129:130], v[4:5], s[36:37], v[6:7]
	v_mul_f64 v[2:3], v[12:13], s[38:39]
	v_add_f64 v[119:120], v[76:77], v[119:120]
	v_fma_f64 v[143:144], v[123:124], s[18:19], v[127:128]
	v_mul_f64 v[145:146], v[121:122], s[16:17]
	v_mul_f64 v[147:148], v[133:134], s[16:17]
	;; [unrolled: 1-line block ×3, first 2 shown]
	v_add_f64 v[46:47], v[46:47], v[40:41]
	v_add_f64 v[24:25], v[129:130], v[24:25]
	v_fma_f64 v[129:130], v[0:1], s[40:41], v[2:3]
	v_add_f64 v[119:120], v[141:142], v[119:120]
	v_add_f64 v[141:142], v[76:77], v[143:144]
	v_fma_f64 v[143:144], v[98:99], s[28:29], v[145:146]
	v_fma_f64 v[149:150], v[82:83], s[28:29], v[147:148]
	v_mul_f64 v[153:154], v[137:138], s[38:39]
	v_add_f64 v[46:47], v[46:47], v[48:49]
	v_mul_f64 v[157:158], v[139:140], s[52:53]
	v_add_f64 v[24:25], v[129:130], v[24:25]
	v_mul_f64 v[155:156], v[139:140], s[44:45]
	v_mul_f64 v[167:168], v[135:136], s[24:25]
	v_add_f64 v[129:130], v[143:144], v[141:142]
	v_add_f64 v[119:120], v[149:150], v[119:120]
	v_fma_f64 v[141:142], v[82:83], s[40:41], v[151:152]
	v_mul_f64 v[149:150], v[137:138], s[42:43]
	v_add_f64 v[46:47], v[46:47], v[104:105]
	v_fma_f64 v[143:144], v[18:19], s[40:41], v[153:154]
	v_mul_f64 v[159:160], v[135:136], s[42:43]
	v_fma_f64 v[175:176], v[8:9], s[34:35], v[167:168]
	v_mul_f64 v[179:180], v[26:27], s[4:5]
	v_mul_f64 v[163:164], v[117:118], s[4:5]
	v_add_f64 v[129:130], v[141:142], v[129:130]
	v_fma_f64 v[141:142], v[18:19], s[20:21], v[149:150]
	v_add_f64 v[46:47], v[46:47], v[106:107]
	v_add_f64 v[119:120], v[143:144], v[119:120]
	v_fma_f64 v[143:144], v[14:15], s[36:37], v[155:156]
	v_mul_f64 v[165:166], v[117:118], s[10:11]
	v_mul_f64 v[173:174], v[121:122], s[44:45]
	;; [unrolled: 1-line block ×4, first 2 shown]
	v_add_f64 v[129:130], v[141:142], v[129:130]
	v_fma_f64 v[141:142], v[14:15], s[26:27], v[157:158]
	v_add_f64 v[161:162], v[46:47], v[108:109]
	v_add_f64 v[119:120], v[143:144], v[119:120]
	v_fma_f64 v[143:144], v[8:9], s[20:21], v[159:160]
	ds_read_b64 v[46:47], v69
	s_waitcnt lgkmcnt(0)
	s_barrier
	v_add_f64 v[129:130], v[141:142], v[129:130]
	v_fma_f64 v[141:142], v[123:124], s[12:13], v[163:164]
	v_fma_f64 v[171:172], v[123:124], s[20:21], v[165:166]
	v_add_f64 v[119:120], v[143:144], v[119:120]
	v_mul_f64 v[143:144], v[121:122], s[38:39]
	ds_write2_b64 v115, v[161:162], v[24:25] offset1:17
	v_fma_f64 v[185:186], v[98:99], s[36:37], v[173:174]
	v_mul_f64 v[187:188], v[133:134], s[42:43]
	v_add_f64 v[129:130], v[175:176], v[129:130]
	v_fma_f64 v[175:176], v[4:5], s[12:13], v[179:180]
	v_add_f64 v[141:142], v[76:77], v[141:142]
	v_add_f64 v[171:172], v[76:77], v[171:172]
	v_fma_f64 v[183:184], v[98:99], s[40:41], v[143:144]
	v_mul_f64 v[189:190], v[133:134], s[52:53]
	v_mul_f64 v[197:198], v[121:122], s[42:43]
	;; [unrolled: 1-line block ×4, first 2 shown]
	v_add_f64 v[24:25], v[175:176], v[129:130]
	v_mul_f64 v[129:130], v[117:118], s[16:17]
	v_mul_f64 v[116:117], v[117:118], s[38:39]
	v_fma_f64 v[177:178], v[4:5], s[18:19], v[169:170]
	v_mul_f64 v[181:182], v[12:13], s[48:49]
	v_add_f64 v[141:142], v[183:184], v[141:142]
	v_add_f64 v[171:172], v[185:186], v[171:172]
	v_fma_f64 v[183:184], v[82:83], s[20:21], v[187:188]
	v_fma_f64 v[185:186], v[82:83], s[26:27], v[189:190]
	v_mul_f64 v[193:194], v[137:138], s[6:7]
	v_fma_f64 v[237:238], v[123:124], s[40:41], v[116:117]
	v_fma_f64 v[116:117], v[123:124], s[40:41], -v[116:117]
	v_mul_f64 v[209:210], v[133:134], s[24:25]
	v_mul_f64 v[213:214], v[133:134], s[4:5]
	v_fma_f64 v[241:242], v[98:99], s[34:35], v[121:122]
	v_fma_f64 v[121:122], v[98:99], s[34:35], -v[121:122]
	v_mul_f64 v[133:134], v[133:134], s[30:31]
	v_add_f64 v[119:120], v[177:178], v[119:120]
	v_add_f64 v[237:238], v[76:77], v[237:238]
	;; [unrolled: 1-line block ×3, first 2 shown]
	v_fma_f64 v[177:178], v[0:1], s[34:35], v[181:182]
	v_mul_f64 v[191:192], v[137:138], s[48:49]
	v_add_f64 v[141:142], v[183:184], v[141:142]
	v_add_f64 v[161:162], v[185:186], v[171:172]
	v_fma_f64 v[175:176], v[18:19], s[18:19], v[193:194]
	v_mul_f64 v[183:184], v[139:140], s[38:39]
	v_fma_f64 v[195:196], v[123:124], s[28:29], v[129:130]
	v_mul_f64 v[215:216], v[137:138], s[30:31]
	v_mul_f64 v[225:226], v[137:138], s[54:55]
	v_add_f64 v[237:238], v[241:242], v[237:238]
	v_add_f64 v[116:117], v[121:122], v[116:117]
	v_fma_f64 v[121:122], v[82:83], s[36:37], v[133:134]
	v_fma_f64 v[133:134], v[82:83], s[36:37], -v[133:134]
	v_mul_f64 v[137:138], v[137:138], s[52:53]
	v_add_f64 v[119:120], v[177:178], v[119:120]
	v_mul_f64 v[177:178], v[139:140], s[6:7]
	v_add_f64 v[161:162], v[175:176], v[161:162]
	v_fma_f64 v[175:176], v[14:15], s[40:41], v[183:184]
	v_add_f64 v[195:196], v[76:77], v[195:196]
	v_fma_f64 v[203:204], v[98:99], s[20:21], v[197:198]
	v_mul_f64 v[227:228], v[139:140], s[56:57]
	v_mul_f64 v[229:230], v[139:140], s[24:25]
	v_add_f64 v[121:122], v[121:122], v[237:238]
	v_add_f64 v[116:117], v[133:134], v[116:117]
	v_fma_f64 v[133:134], v[18:19], s[26:27], v[137:138]
	v_fma_f64 v[137:138], v[18:19], s[26:27], -v[137:138]
	v_mul_f64 v[139:140], v[139:140], s[16:17]
	v_fma_f64 v[205:206], v[123:124], s[36:37], v[199:200]
	v_add_f64 v[161:162], v[175:176], v[161:162]
	v_mul_f64 v[175:176], v[135:136], s[56:57]
	v_add_f64 v[195:196], v[203:204], v[195:196]
	v_fma_f64 v[211:212], v[82:83], s[34:35], v[209:210]
	v_add_f64 v[121:122], v[133:134], v[121:122]
	v_add_f64 v[116:117], v[137:138], v[116:117]
	v_fma_f64 v[133:134], v[14:15], s[28:29], v[139:140]
	v_fma_f64 v[129:130], v[123:124], s[28:29], -v[129:130]
	v_fma_f64 v[137:138], v[123:124], s[36:37], -v[199:200]
	;; [unrolled: 1-line block ×7, first 2 shown]
	v_fma_f64 v[171:172], v[18:19], s[34:35], v[191:192]
	v_add_f64 v[203:204], v[76:77], v[205:206]
	v_fma_f64 v[219:220], v[8:9], s[12:13], v[175:176]
	v_mul_f64 v[223:224], v[26:27], s[24:25]
	v_add_f64 v[195:196], v[211:212], v[195:196]
	v_fma_f64 v[211:212], v[18:19], s[36:37], v[215:216]
	v_add_f64 v[121:122], v[133:134], v[121:122]
	v_add_f64 v[129:130], v[76:77], v[129:130]
	;; [unrolled: 1-line block ×8, first 2 shown]
	v_fma_f64 v[123:124], v[14:15], s[28:29], -v[139:140]
	v_fma_f64 v[205:206], v[98:99], s[18:19], v[207:208]
	v_add_f64 v[141:142], v[171:172], v[141:142]
	v_fma_f64 v[171:172], v[14:15], s[18:19], v[177:178]
	v_add_f64 v[161:162], v[219:220], v[161:162]
	;; [unrolled: 2-line block ×3, first 2 shown]
	v_fma_f64 v[211:212], v[14:15], s[12:13], v[227:228]
	v_mul_f64 v[231:232], v[135:136], s[22:23]
	v_fma_f64 v[139:140], v[98:99], s[20:21], -v[197:198]
	v_fma_f64 v[163:164], v[98:99], s[18:19], -v[207:208]
	;; [unrolled: 1-line block ×7, first 2 shown]
	v_add_f64 v[110:111], v[123:124], v[116:117]
	v_mul_f64 v[116:117], v[135:136], s[46:47]
	v_add_f64 v[203:204], v[205:206], v[203:204]
	v_fma_f64 v[205:206], v[82:83], s[12:13], v[213:214]
	v_add_f64 v[141:142], v[171:172], v[141:142]
	v_mul_f64 v[171:172], v[135:136], s[30:31]
	v_add_f64 v[161:162], v[219:220], v[161:162]
	v_add_f64 v[195:196], v[211:212], v[195:196]
	v_fma_f64 v[211:212], v[8:9], s[26:27], v[231:232]
	v_mul_f64 v[219:220], v[135:136], s[38:39]
	v_add_f64 v[123:124], v[139:140], v[129:130]
	v_add_f64 v[129:130], v[163:164], v[131:132]
	;; [unrolled: 1-line block ×7, first 2 shown]
	v_fma_f64 v[98:99], v[8:9], s[18:19], v[116:117]
	v_fma_f64 v[127:128], v[82:83], s[34:35], -v[209:210]
	v_fma_f64 v[135:136], v[82:83], s[12:13], -v[213:214]
	v_fma_f64 v[137:138], v[82:83], s[20:21], -v[187:188]
	v_fma_f64 v[139:140], v[82:83], s[26:27], -v[189:190]
	v_fma_f64 v[143:144], v[82:83], s[28:29], -v[147:148]
	v_fma_f64 v[145:146], v[82:83], s[40:41], -v[151:152]
	v_fma_f64 v[82:83], v[82:83], s[18:19], -v[96:97]
	v_add_f64 v[203:204], v[205:206], v[203:204]
	v_fma_f64 v[205:206], v[18:19], s[28:29], v[225:226]
	v_mul_f64 v[221:222], v[26:27], s[54:55]
	v_add_f64 v[195:196], v[211:212], v[195:196]
	v_mul_f64 v[211:212], v[26:27], s[38:39]
	v_mul_f64 v[239:240], v[26:27], s[52:53]
	v_add_f64 v[96:97], v[98:99], v[121:122]
	v_add_f64 v[98:99], v[127:128], v[123:124]
	v_add_f64 v[121:122], v[135:136], v[129:130]
	v_add_f64 v[123:124], v[137:138], v[131:132]
	v_add_f64 v[127:128], v[139:140], v[133:134]
	v_add_f64 v[125:126], v[145:146], v[125:126]
	v_add_f64 v[76:77], v[82:83], v[76:77]
	v_fma_f64 v[82:83], v[8:9], s[18:19], -v[116:117]
	v_fma_f64 v[116:117], v[18:19], s[36:37], -v[215:216]
	;; [unrolled: 1-line block ×8, first 2 shown]
	v_mul_f64 v[26:27], v[26:27], s[10:11]
	v_fma_f64 v[217:218], v[8:9], s[36:37], v[171:172]
	v_add_f64 v[20:21], v[143:144], v[20:21]
	v_add_f64 v[203:204], v[205:206], v[203:204]
	v_fma_f64 v[205:206], v[14:15], s[34:35], v[229:230]
	v_add_f64 v[22:23], v[82:83], v[110:111]
	v_add_f64 v[82:83], v[116:117], v[98:99]
	;; [unrolled: 1-line block ×7, first 2 shown]
	v_fma_f64 v[76:77], v[4:5], s[20:21], v[26:27]
	v_fma_f64 v[123:124], v[14:15], s[12:13], -v[227:228]
	v_fma_f64 v[125:126], v[14:15], s[34:35], -v[229:230]
	;; [unrolled: 1-line block ×7, first 2 shown]
	v_add_f64 v[141:142], v[217:218], v[141:142]
	v_fma_f64 v[217:218], v[4:5], s[28:29], v[221:222]
	v_add_f64 v[20:21], v[135:136], v[20:21]
	v_add_f64 v[203:204], v[205:206], v[203:204]
	v_fma_f64 v[205:206], v[8:9], s[40:41], v[219:220]
	v_add_f64 v[16:17], v[76:77], v[96:97]
	v_add_f64 v[76:77], v[123:124], v[82:83]
	;; [unrolled: 1-line block ×7, first 2 shown]
	v_fma_f64 v[18:19], v[4:5], s[20:21], -v[26:27]
	v_fma_f64 v[26:27], v[8:9], s[26:27], -v[231:232]
	;; [unrolled: 1-line block ×8, first 2 shown]
	v_mul_f64 v[185:186], v[12:13], s[30:31]
	v_add_f64 v[141:142], v[217:218], v[141:142]
	v_mul_f64 v[217:218], v[12:13], s[52:53]
	v_mul_f64 v[235:236], v[12:13], s[16:17]
	;; [unrolled: 1-line block ×5, first 2 shown]
	v_add_f64 v[20:21], v[131:132], v[20:21]
	v_add_f64 v[203:204], v[205:206], v[203:204]
	v_fma_f64 v[205:206], v[4:5], s[40:41], v[211:212]
	v_fma_f64 v[243:244], v[4:5], s[26:27], v[239:240]
	v_add_f64 v[10:11], v[18:19], v[22:23]
	v_add_f64 v[18:19], v[26:27], v[76:77]
	;; [unrolled: 1-line block ×7, first 2 shown]
	v_fma_f64 v[96:97], v[4:5], s[40:41], -v[211:212]
	v_fma_f64 v[98:99], v[4:5], s[26:27], -v[239:240]
	;; [unrolled: 1-line block ×7, first 2 shown]
	v_fma_f64 v[14:15], v[0:1], s[12:13], v[12:13]
	v_add_f64 v[20:21], v[125:126], v[20:21]
	v_fma_f64 v[201:202], v[0:1], s[36:37], v[185:186]
	v_fma_f64 v[233:234], v[0:1], s[26:27], v[217:218]
	;; [unrolled: 1-line block ×3, first 2 shown]
	v_add_f64 v[195:196], v[205:206], v[195:196]
	v_add_f64 v[203:204], v[243:244], v[203:204]
	v_fma_f64 v[205:206], v[0:1], s[18:19], v[245:246]
	v_fma_f64 v[243:244], v[0:1], s[20:21], v[247:248]
	v_add_f64 v[4:5], v[4:5], v[8:9]
	v_fma_f64 v[8:9], v[0:1], s[12:13], -v[12:13]
	v_add_f64 v[6:7], v[14:15], v[16:17]
	v_add_f64 v[14:15], v[96:97], v[18:19]
	;; [unrolled: 1-line block ×4, first 2 shown]
	v_fma_f64 v[12:13], v[0:1], s[18:19], -v[245:246]
	v_fma_f64 v[76:77], v[0:1], s[20:21], -v[247:248]
	v_add_f64 v[18:19], v[110:111], v[26:27]
	v_add_f64 v[26:27], v[123:124], v[82:83]
	v_fma_f64 v[82:83], v[0:1], s[26:27], -v[217:218]
	v_fma_f64 v[96:97], v[0:1], s[28:29], -v[235:236]
	v_add_f64 v[20:21], v[121:122], v[20:21]
	v_fma_f64 v[98:99], v[0:1], s[34:35], -v[181:182]
	v_fma_f64 v[110:111], v[0:1], s[36:37], -v[185:186]
	;; [unrolled: 1-line block ×3, first 2 shown]
	v_add_f64 v[24:25], v[201:202], v[24:25]
	v_add_f64 v[141:142], v[233:234], v[141:142]
	;; [unrolled: 1-line block ×13, first 2 shown]
	ds_write2_b64 v115, v[119:120], v[24:25] offset0:34 offset1:51
	ds_write2_b64 v115, v[141:142], v[161:162] offset0:68 offset1:85
	;; [unrolled: 1-line block ×7, first 2 shown]
	ds_write_b64 v115, v[76:77] offset:2176
	s_waitcnt lgkmcnt(0)
	s_barrier
	ds_read_b64 v[96:97], v69
	ds_read_b64 v[98:99], v67 offset:4216
	ds_read2_b64 v[8:11], v114 offset0:110 offset1:161
	ds_read2_b64 v[0:3], v67 offset0:34 offset1:68
	;; [unrolled: 1-line block ×7, first 2 shown]
                                        ; implicit-def: $vgpr82_vgpr83
	s_and_saveexec_b64 s[2:3], vcc
	s_cbranch_execz .LBB0_14
; %bb.13:
	ds_read_b64 v[76:77], v67 offset:2176
	ds_read_b64 v[82:83], v67 offset:4488
.LBB0_14:
	s_or_b64 exec, exec, s[2:3]
	v_add_f64 v[110:111], v[46:47], v[94:95]
	v_add_f64 v[92:93], v[92:93], -v[108:109]
	v_add_f64 v[108:109], v[80:81], v[100:101]
	v_add_f64 v[90:91], v[90:91], -v[106:107]
	v_add_f64 v[106:107], v[78:79], v[102:103]
	v_add_f64 v[94:95], v[94:95], v[74:75]
	v_add_f64 v[86:87], v[86:87], -v[104:105]
	v_add_f64 v[48:49], v[63:64], -v[48:49]
	v_add_f64 v[80:81], v[110:111], v[80:81]
	v_add_f64 v[40:41], v[59:60], -v[40:41]
	v_mul_f64 v[126:127], v[108:109], s[12:13]
	v_mul_f64 v[128:129], v[108:109], s[28:29]
	;; [unrolled: 1-line block ×6, first 2 shown]
	v_add_f64 v[78:79], v[80:81], v[78:79]
	v_mul_f64 v[118:119], v[94:95], s[12:13]
	v_mul_f64 v[120:121], v[94:95], s[20:21]
	;; [unrolled: 1-line block ×6, first 2 shown]
	v_fma_f64 v[148:149], v[92:93], s[48:49], v[104:105]
	v_add_f64 v[78:79], v[78:79], v[65:66]
	v_fma_f64 v[104:105], v[92:93], s[24:25], v[104:105]
	v_fma_f64 v[150:151], v[92:93], s[52:53], v[110:111]
	;; [unrolled: 1-line block ×6, first 2 shown]
	v_mul_f64 v[132:133], v[108:109], s[36:37]
	v_add_f64 v[78:79], v[78:79], v[61:62]
	v_mul_f64 v[134:135], v[108:109], s[20:21]
	v_mul_f64 v[136:137], v[108:109], s[18:19]
	;; [unrolled: 1-line block ×7, first 2 shown]
	v_add_f64 v[78:79], v[78:79], v[57:58]
	v_fma_f64 v[118:119], v[92:93], s[4:5], v[118:119]
	v_fma_f64 v[156:157], v[92:93], s[42:43], v[120:121]
	v_fma_f64 v[120:121], v[92:93], s[10:11], v[120:121]
	v_fma_f64 v[158:159], v[92:93], s[54:55], v[122:123]
	v_fma_f64 v[122:123], v[92:93], s[16:17], v[122:123]
	v_fma_f64 v[160:161], v[92:93], s[44:45], v[124:125]
	v_fma_f64 v[124:125], v[92:93], s[30:31], v[124:125]
	v_add_f64 v[78:79], v[78:79], v[44:45]
	v_fma_f64 v[162:163], v[92:93], s[50:51], v[94:95]
	v_fma_f64 v[92:93], v[92:93], s[38:39], v[94:95]
	;; [unrolled: 1-line block ×7, first 2 shown]
	v_add_f64 v[78:79], v[78:79], v[28:29]
	v_fma_f64 v[128:129], v[90:91], s[16:17], v[128:129]
	v_fma_f64 v[168:169], v[90:91], s[50:51], v[130:131]
	v_add_f64 v[148:149], v[46:47], v[148:149]
	v_add_f64 v[104:105], v[46:47], v[104:105]
	v_add_f64 v[150:151], v[46:47], v[150:151]
	v_add_f64 v[110:111], v[46:47], v[110:111]
	v_add_f64 v[152:153], v[46:47], v[152:153]
	v_add_f64 v[78:79], v[78:79], v[30:31]
	v_add_f64 v[116:117], v[46:47], v[116:117]
	v_add_f64 v[154:155], v[46:47], v[154:155]
	v_mul_f64 v[146:147], v[106:107], s[26:27]
	v_fma_f64 v[130:131], v[90:91], s[38:39], v[130:131]
	v_fma_f64 v[170:171], v[90:91], s[30:31], v[132:133]
	v_fma_f64 v[132:133], v[90:91], s[44:45], v[132:133]
	v_fma_f64 v[172:173], v[90:91], s[10:11], v[134:135]
	v_add_f64 v[78:79], v[78:79], v[34:35]
	v_fma_f64 v[134:135], v[90:91], s[42:43], v[134:135]
	v_fma_f64 v[174:175], v[90:91], s[6:7], v[136:137]
	;; [unrolled: 1-line block ×7, first 2 shown]
	v_add_f64 v[78:79], v[78:79], v[38:39]
	v_fma_f64 v[140:141], v[86:87], s[16:17], v[140:141]
	v_fma_f64 v[180:181], v[86:87], s[38:39], v[142:143]
	;; [unrolled: 1-line block ×4, first 2 shown]
	v_add_f64 v[118:119], v[46:47], v[118:119]
	v_add_f64 v[156:157], v[46:47], v[156:157]
	;; [unrolled: 1-line block ×25, first 2 shown]
	v_mul_f64 v[108:109], v[106:107], s[34:35]
	v_fma_f64 v[110:111], v[86:87], s[52:53], v[146:147]
	v_add_f64 v[78:79], v[78:79], v[100:101]
	v_add_f64 v[50:51], v[65:66], v[50:51]
	v_fma_f64 v[138:139], v[86:87], s[6:7], v[138:139]
	v_add_f64 v[128:129], v[172:173], v[158:159]
	v_add_f64 v[122:123], v[134:135], v[122:123]
	;; [unrolled: 1-line block ×3, first 2 shown]
	v_mul_f64 v[65:66], v[106:107], s[36:37]
	v_add_f64 v[110:111], v[110:111], v[120:121]
	v_add_f64 v[74:75], v[78:79], v[74:75]
	;; [unrolled: 1-line block ×4, first 2 shown]
	v_mul_f64 v[126:127], v[106:107], s[12:13]
	v_fma_f64 v[106:107], v[86:87], s[48:49], v[108:109]
	v_fma_f64 v[108:109], v[86:87], s[24:25], v[108:109]
	v_mul_f64 v[63:64], v[50:51], s[12:13]
	v_fma_f64 v[144:145], v[86:87], s[42:43], v[144:145]
	v_fma_f64 v[184:185], v[86:87], s[22:23], v[146:147]
	v_add_f64 v[102:103], v[130:131], v[118:119]
	v_add_f64 v[130:131], v[174:175], v[160:161]
	v_fma_f64 v[120:121], v[86:87], s[56:57], v[126:127]
	v_fma_f64 v[126:127], v[86:87], s[4:5], v[126:127]
	v_add_f64 v[80:81], v[138:139], v[80:81]
	v_fma_f64 v[132:133], v[86:87], s[44:45], v[65:66]
	v_add_f64 v[106:107], v[106:107], v[128:129]
	;; [unrolled: 2-line block ×3, first 2 shown]
	v_mul_f64 v[108:109], v[50:51], s[40:41]
	v_mul_f64 v[128:129], v[50:51], s[34:35]
	v_add_f64 v[122:123], v[126:127], v[124:125]
	v_fma_f64 v[124:125], v[48:49], s[56:57], v[63:64]
	v_mul_f64 v[126:127], v[50:51], s[20:21]
	v_fma_f64 v[63:64], v[48:49], s[4:5], v[63:64]
	v_add_f64 v[118:119], v[170:171], v[156:157]
	v_add_f64 v[120:121], v[120:121], v[130:131]
	;; [unrolled: 1-line block ×3, first 2 shown]
	v_fma_f64 v[65:66], v[48:49], s[50:51], v[108:109]
	v_fma_f64 v[108:109], v[48:49], s[38:39], v[108:109]
	v_add_f64 v[90:91], v[124:125], v[90:91]
	v_mul_f64 v[124:125], v[50:51], s[18:19]
	v_fma_f64 v[130:131], v[48:49], s[10:11], v[126:127]
	v_fma_f64 v[126:127], v[48:49], s[42:43], v[126:127]
	v_add_f64 v[63:64], v[63:64], v[80:81]
	v_fma_f64 v[80:81], v[48:49], s[24:25], v[128:129]
	v_add_f64 v[102:103], v[144:145], v[102:103]
	v_add_f64 v[118:119], v[184:185], v[118:119]
	;; [unrolled: 1-line block ×4, first 2 shown]
	v_fma_f64 v[94:95], v[48:49], s[48:49], v[128:129]
	v_fma_f64 v[108:109], v[48:49], s[46:47], v[124:125]
	v_add_f64 v[78:79], v[126:127], v[78:79]
	v_mul_f64 v[126:127], v[50:51], s[36:37]
	v_fma_f64 v[124:125], v[48:49], s[6:7], v[124:125]
	v_add_f64 v[80:81], v[80:81], v[116:117]
	v_mul_f64 v[116:117], v[50:51], s[28:29]
	v_add_f64 v[42:43], v[61:62], v[42:43]
	v_mul_f64 v[50:51], v[50:51], s[26:27]
	v_add_f64 v[94:95], v[94:95], v[102:103]
	v_add_f64 v[102:103], v[108:109], v[118:119]
	v_fma_f64 v[61:62], v[48:49], s[44:45], v[126:127]
	v_add_f64 v[108:109], v[124:125], v[110:111]
	v_fma_f64 v[110:111], v[48:49], s[30:31], v[126:127]
	v_fma_f64 v[118:119], v[48:49], s[16:17], v[116:117]
	;; [unrolled: 1-line block ×3, first 2 shown]
	v_mul_f64 v[59:60], v[42:43], s[20:21]
	v_fma_f64 v[124:125], v[48:49], s[22:23], v[50:51]
	v_fma_f64 v[48:49], v[48:49], s[52:53], v[50:51]
	v_add_f64 v[61:62], v[61:62], v[106:107]
	v_add_f64 v[38:39], v[57:58], v[38:39]
	v_add_f64 v[50:51], v[110:111], v[86:87]
	v_mul_f64 v[86:87], v[42:43], s[36:37]
	v_add_f64 v[106:107], v[118:119], v[120:121]
	v_add_f64 v[110:111], v[116:117], v[122:123]
	v_fma_f64 v[116:117], v[40:41], s[42:43], v[59:60]
	v_mul_f64 v[118:119], v[42:43], s[26:27]
	v_add_f64 v[46:47], v[48:49], v[46:47]
	v_fma_f64 v[48:49], v[40:41], s[10:11], v[59:60]
	v_mul_f64 v[120:121], v[42:43], s[18:19]
	v_fma_f64 v[59:60], v[40:41], s[30:31], v[86:87]
	v_fma_f64 v[86:87], v[40:41], s[44:45], v[86:87]
	v_add_f64 v[36:37], v[54:55], -v[36:37]
	v_add_f64 v[90:91], v[116:117], v[90:91]
	v_mul_f64 v[116:117], v[42:43], s[40:41]
	v_fma_f64 v[122:123], v[40:41], s[22:23], v[118:119]
	v_fma_f64 v[118:119], v[40:41], s[52:53], v[118:119]
	v_add_f64 v[48:49], v[48:49], v[63:64]
	v_fma_f64 v[63:64], v[40:41], s[46:47], v[120:121]
	v_add_f64 v[59:60], v[59:60], v[65:66]
	v_add_f64 v[65:66], v[86:87], v[92:93]
	v_fma_f64 v[86:87], v[40:41], s[6:7], v[120:121]
	v_fma_f64 v[92:93], v[40:41], s[50:51], v[116:117]
	;; [unrolled: 1-line block ×3, first 2 shown]
	v_add_f64 v[78:79], v[118:119], v[78:79]
	v_mul_f64 v[118:119], v[42:43], s[12:13]
	v_add_f64 v[63:64], v[63:64], v[80:81]
	v_mul_f64 v[80:81], v[42:43], s[34:35]
	v_mul_f64 v[42:43], v[42:43], s[28:29]
	v_add_f64 v[86:87], v[86:87], v[94:95]
	v_add_f64 v[92:93], v[92:93], v[102:103]
	;; [unrolled: 1-line block ×3, first 2 shown]
	v_mul_f64 v[54:55], v[38:39], s[28:29]
	v_fma_f64 v[57:58], v[40:41], s[4:5], v[118:119]
	v_fma_f64 v[102:103], v[40:41], s[56:57], v[118:119]
	;; [unrolled: 1-line block ×6, first 2 shown]
	v_add_f64 v[100:101], v[176:177], v[162:163]
	v_add_f64 v[34:35], v[44:45], v[34:35]
	;; [unrolled: 1-line block ×5, first 2 shown]
	v_mul_f64 v[61:62], v[38:39], s[20:21]
	v_fma_f64 v[102:103], v[36:37], s[54:55], v[54:55]
	v_mul_f64 v[106:107], v[38:39], s[34:35]
	v_add_f64 v[40:41], v[40:41], v[46:47]
	v_fma_f64 v[46:47], v[36:37], s[16:17], v[54:55]
	v_mul_f64 v[54:55], v[38:39], s[36:37]
	v_add_f64 v[80:81], v[80:81], v[110:111]
	v_add_f64 v[100:101], v[132:133], v[100:101]
	v_fma_f64 v[108:109], v[36:37], s[10:11], v[61:62]
	v_fma_f64 v[61:62], v[36:37], s[42:43], v[61:62]
	v_add_f64 v[90:91], v[102:103], v[90:91]
	v_mul_f64 v[102:103], v[38:39], s[12:13]
	v_fma_f64 v[110:111], v[36:37], s[48:49], v[106:107]
	v_fma_f64 v[106:107], v[36:37], s[24:25], v[106:107]
	v_add_f64 v[46:47], v[46:47], v[48:49]
	v_fma_f64 v[48:49], v[36:37], s[44:45], v[54:55]
	v_add_f64 v[104:105], v[130:131], v[104:105]
	v_add_f64 v[61:62], v[61:62], v[65:66]
	;; [unrolled: 1-line block ×3, first 2 shown]
	v_fma_f64 v[65:66], v[36:37], s[4:5], v[102:103]
	v_fma_f64 v[54:55], v[36:37], s[30:31], v[54:55]
	v_add_f64 v[78:79], v[106:107], v[78:79]
	v_mul_f64 v[106:107], v[38:39], s[26:27]
	v_add_f64 v[48:49], v[48:49], v[63:64]
	v_fma_f64 v[63:64], v[36:37], s[56:57], v[102:103]
	v_mul_f64 v[102:103], v[38:39], s[40:41]
	v_mul_f64 v[38:39], v[38:39], s[18:19]
	v_add_f64 v[65:66], v[65:66], v[92:93]
	v_add_f64 v[32:33], v[52:53], -v[32:33]
	v_mul_f64 v[52:53], v[34:35], s[36:37]
	v_fma_f64 v[44:45], v[36:37], s[52:53], v[106:107]
	v_add_f64 v[104:105], v[122:123], v[104:105]
	v_add_f64 v[63:64], v[63:64], v[94:95]
	v_fma_f64 v[92:93], v[36:37], s[50:51], v[102:103]
	v_fma_f64 v[94:95], v[36:37], s[38:39], v[102:103]
	v_add_f64 v[100:101], v[116:117], v[100:101]
	v_add_f64 v[54:55], v[54:55], v[86:87]
	v_fma_f64 v[86:87], v[36:37], s[22:23], v[106:107]
	v_fma_f64 v[102:103], v[36:37], s[6:7], v[38:39]
	v_add_f64 v[44:45], v[44:45], v[57:58]
	v_fma_f64 v[36:37], v[36:37], s[46:47], v[38:39]
	v_add_f64 v[38:39], v[92:93], v[50:51]
	v_mul_f64 v[50:51], v[34:35], s[18:19]
	v_add_f64 v[57:58], v[94:95], v[80:81]
	v_fma_f64 v[80:81], v[32:33], s[44:45], v[52:53]
	v_mul_f64 v[92:93], v[34:35], s[12:13]
	v_fma_f64 v[52:53], v[32:33], s[30:31], v[52:53]
	v_add_f64 v[59:60], v[108:109], v[59:60]
	v_add_f64 v[104:105], v[110:111], v[104:105]
	;; [unrolled: 1-line block ×5, first 2 shown]
	v_mul_f64 v[40:41], v[34:35], s[28:29]
	v_fma_f64 v[94:95], v[32:33], s[6:7], v[50:51]
	v_fma_f64 v[50:51], v[32:33], s[46:47], v[50:51]
	v_add_f64 v[80:81], v[80:81], v[90:91]
	v_mul_f64 v[90:91], v[34:35], s[34:35]
	v_fma_f64 v[100:101], v[32:33], s[56:57], v[92:93]
	v_add_f64 v[46:47], v[52:53], v[46:47]
	v_fma_f64 v[52:53], v[32:33], s[4:5], v[92:93]
	v_fma_f64 v[92:93], v[32:33], s[16:17], v[40:41]
	v_add_f64 v[94:95], v[94:95], v[59:60]
	v_add_f64 v[50:51], v[50:51], v[61:62]
	v_fma_f64 v[40:41], v[32:33], s[54:55], v[40:41]
	v_fma_f64 v[59:60], v[32:33], s[48:49], v[90:91]
	v_add_f64 v[61:62], v[100:101], v[104:105]
	v_mul_f64 v[100:101], v[34:35], s[40:41]
	v_add_f64 v[52:53], v[52:53], v[78:79]
	v_fma_f64 v[78:79], v[32:33], s[24:25], v[90:91]
	v_mul_f64 v[90:91], v[34:35], s[26:27]
	v_add_f64 v[28:29], v[28:29], v[30:31]
	v_add_f64 v[40:41], v[40:41], v[54:55]
	v_add_f64 v[54:55], v[59:60], v[65:66]
	v_mul_f64 v[34:35], v[34:35], s[20:21]
	v_fma_f64 v[30:31], v[32:33], s[50:51], v[100:101]
	v_fma_f64 v[59:60], v[32:33], s[38:39], v[100:101]
	v_add_f64 v[63:64], v[78:79], v[63:64]
	v_fma_f64 v[65:66], v[32:33], s[22:23], v[90:91]
	v_fma_f64 v[78:79], v[32:33], s[52:53], v[90:91]
	v_add_f64 v[84:85], v[84:85], -v[88:89]
	v_mul_f64 v[88:89], v[28:29], s[40:41]
	v_add_f64 v[48:49], v[92:93], v[48:49]
	v_add_f64 v[30:31], v[30:31], v[44:45]
	;; [unrolled: 1-line block ×3, first 2 shown]
	v_fma_f64 v[44:45], v[32:33], s[42:43], v[34:35]
	v_mul_f64 v[59:60], v[28:29], s[34:35]
	v_add_f64 v[38:39], v[65:66], v[38:39]
	v_add_f64 v[65:66], v[78:79], v[57:58]
	v_fma_f64 v[32:33], v[32:33], s[10:11], v[34:35]
	v_mul_f64 v[78:79], v[28:29], s[36:37]
	v_fma_f64 v[57:58], v[84:85], s[38:39], v[88:89]
	v_fma_f64 v[34:35], v[84:85], s[50:51], v[88:89]
	v_add_f64 v[44:45], v[44:45], v[86:87]
	v_fma_f64 v[86:87], v[84:85], s[24:25], v[59:60]
	v_mul_f64 v[88:89], v[28:29], s[26:27]
	v_fma_f64 v[90:91], v[84:85], s[48:49], v[59:60]
	v_add_f64 v[32:33], v[32:33], v[36:37]
	v_fma_f64 v[36:37], v[84:85], s[44:45], v[78:79]
	v_add_f64 v[58:59], v[57:58], v[46:47]
	;; [unrolled: 2-line block ×3, first 2 shown]
	v_add_f64 v[78:79], v[86:87], v[94:95]
	v_fma_f64 v[80:81], v[84:85], s[22:23], v[88:89]
	v_fma_f64 v[86:87], v[84:85], s[52:53], v[88:89]
	v_mul_f64 v[88:89], v[28:29], s[28:29]
	v_add_f64 v[36:37], v[36:37], v[61:62]
	v_mul_f64 v[60:61], v[28:29], s[18:19]
	v_add_f64 v[46:47], v[46:47], v[52:53]
	v_mul_f64 v[52:53], v[28:29], s[20:21]
	v_mul_f64 v[28:29], v[28:29], s[12:13]
	v_add_f64 v[48:49], v[80:81], v[48:49]
	v_add_f64 v[50:51], v[90:91], v[50:51]
	v_fma_f64 v[80:81], v[84:85], s[54:55], v[88:89]
	v_add_f64 v[40:41], v[86:87], v[40:41]
	v_fma_f64 v[86:87], v[84:85], s[16:17], v[88:89]
	v_fma_f64 v[88:89], v[84:85], s[6:7], v[60:61]
	;; [unrolled: 1-line block ×7, first 2 shown]
	v_add_f64 v[54:55], v[80:81], v[54:55]
	v_add_f64 v[62:63], v[86:87], v[63:64]
	v_add_f64 v[30:31], v[88:89], v[30:31]
	v_add_f64 v[38:39], v[90:91], v[38:39]
	v_add_f64 v[44:45], v[92:93], v[44:45]
	v_add_f64 v[28:29], v[28:29], v[32:33]
	v_add_f64 v[42:43], v[60:61], v[42:43]
	v_add_f64 v[52:53], v[52:53], v[65:66]
	s_waitcnt lgkmcnt(0)
	s_barrier
	ds_write2_b64 v115, v[74:75], v[34:35] offset1:17
	ds_write2_b64 v115, v[78:79], v[36:37] offset0:34 offset1:51
	ds_write2_b64 v115, v[48:49], v[54:55] offset0:68 offset1:85
	;; [unrolled: 1-line block ×7, first 2 shown]
	ds_write_b64 v115, v[58:59] offset:2176
	s_waitcnt lgkmcnt(0)
	s_barrier
	ds_read2_b64 v[36:39], v114 offset0:110 offset1:161
	ds_read2_b64 v[28:31], v67 offset0:34 offset1:68
	ds_read2_b64 v[44:47], v113 offset0:67 offset1:101
	ds_read2_b64 v[32:35], v67 offset0:102 offset1:136
	ds_read2_b64 v[48:51], v113 offset0:135 offset1:169
	ds_read2_b64 v[40:43], v67 offset0:170 offset1:204
	ds_read2_b64 v[52:55], v113 offset0:203 offset1:237
	ds_read_b64 v[62:63], v69
	ds_read_b64 v[64:65], v67 offset:4216
                                        ; implicit-def: $vgpr60_vgpr61
	s_and_saveexec_b64 s[2:3], vcc
	s_cbranch_execz .LBB0_16
; %bb.15:
	ds_read_b64 v[58:59], v67 offset:2176
	ds_read_b64 v[60:61], v67 offset:4488
	v_add_u32_e32 v56, 0x110, v68
.LBB0_16:
	s_or_b64 exec, exec, s[2:3]
	s_and_saveexec_b64 s[2:3], s[0:1]
	s_cbranch_execz .LBB0_19
; %bb.17:
	v_mov_b32_e32 v69, 0
	v_lshlrev_b64 v[66:67], 4, v[68:69]
	v_mov_b32_e32 v57, s9
	v_add_co_u32_e32 v66, vcc, s8, v66
	v_addc_co_u32_e32 v57, vcc, v57, v67, vcc
	v_add_co_u32_e32 v66, vcc, 0x1000, v66
	v_addc_co_u32_e32 v67, vcc, 0, v57, vcc
	global_load_dwordx4 v[78:81], v[66:67], off offset:4064
	global_load_dwordx4 v[84:87], v[66:67], off offset:3520
	;; [unrolled: 1-line block ×8, first 2 shown]
	v_mul_lo_u32 v57, s59, v72
	v_mul_lo_u32 v68, s58, v73
	v_mad_u64_u32 v[66:67], s[0:1], s58, v72, 0
	s_mov_b32 s1, 0xe2c4a689
	v_mul_hi_u32 v73, v112, s1
	v_add3_u32 v67, v67, v68, v57
	v_lshlrev_b64 v[66:67], 4, v[66:67]
	v_mov_b32_e32 v72, s15
	v_lshlrev_b64 v[70:71], 4, v[70:71]
	v_add_co_u32_e32 v66, vcc, s14, v66
	v_addc_co_u32_e32 v67, vcc, v72, v67, vcc
	v_add_co_u32_e32 v66, vcc, v66, v70
	v_lshrrev_b32_e32 v57, 8, v73
	v_addc_co_u32_e32 v67, vcc, v67, v71, vcc
	v_add_u32_e32 v131, 34, v112
	v_mul_hi_u32 v132, v131, s1
	v_mul_u32_u24_e32 v57, 0x121, v57
	v_sub_u32_e32 v57, v112, v57
	v_lshlrev_b32_e32 v57, 4, v57
	v_add_co_u32_e32 v74, vcc, v66, v57
	s_movk_i32 s2, 0x1000
	v_addc_co_u32_e32 v75, vcc, 0, v67, vcc
	v_add_co_u32_e32 v117, vcc, s2, v74
	s_movk_i32 s2, 0x242
	v_addc_co_u32_e32 v118, vcc, 0, v75, vcc
	s_movk_i32 s0, 0x121
	s_waitcnt vmcnt(7)
	v_mul_f64 v[70:71], v[98:99], v[80:81]
	s_waitcnt lgkmcnt(0)
	v_mul_f64 v[72:73], v[64:65], v[80:81]
	s_waitcnt vmcnt(6)
	v_mul_f64 v[80:81], v[26:27], v[86:87]
	v_mul_f64 v[86:87], v[54:55], v[86:87]
	s_waitcnt vmcnt(5)
	v_mul_f64 v[119:120], v[24:25], v[90:91]
	;; [unrolled: 3-line block ×7, first 2 shown]
	v_mul_f64 v[115:116], v[38:39], v[115:116]
	v_fma_f64 v[64:65], v[64:65], v[78:79], -v[70:71]
	v_fma_f64 v[70:71], v[98:99], v[78:79], v[72:73]
	v_fma_f64 v[54:55], v[54:55], v[84:85], -v[80:81]
	v_fma_f64 v[26:27], v[26:27], v[84:85], v[86:87]
	;; [unrolled: 2-line block ×8, first 2 shown]
	v_add_f64 v[18:19], v[36:37], -v[64:65]
	v_add_f64 v[16:17], v[8:9], -v[70:71]
	;; [unrolled: 1-line block ×15, first 2 shown]
	v_fma_f64 v[10:11], v[36:37], 2.0, -v[18:19]
	v_fma_f64 v[36:37], v[14:15], 2.0, -v[20:21]
	;; [unrolled: 1-line block ×11, first 2 shown]
	v_lshrrev_b32_e32 v28, 8, v132
	v_mul_u32_u24_e32 v29, 0x121, v28
	v_sub_u32_e32 v29, v131, v29
	v_mad_u32_u24 v68, v28, s2, v29
	v_lshlrev_b64 v[28:29], 4, v[68:69]
	global_store_dwordx4 v[74:75], v[62:65], off
	global_store_dwordx4 v[117:118], v[78:81], off offset:528
	v_add_co_u32_e32 v28, vcc, v66, v28
	v_addc_co_u32_e32 v29, vcc, v67, v29, vcc
	global_store_dwordx4 v[28:29], v[0:3], off
	v_add_u32_e32 v68, 0x121, v68
	v_add_u32_e32 v2, 0x44, v112
	v_lshlrev_b64 v[0:1], 4, v[68:69]
	v_mul_hi_u32 v3, v2, s1
	v_add_co_u32_e32 v0, vcc, v66, v0
	v_addc_co_u32_e32 v1, vcc, v67, v1, vcc
	global_store_dwordx4 v[0:1], v[70:73], off
	v_lshrrev_b32_e32 v0, 8, v3
	v_mul_u32_u24_e32 v1, 0x121, v0
	v_sub_u32_e32 v1, v2, v1
	v_mad_u32_u24 v68, v0, s2, v1
	v_lshlrev_b64 v[0:1], 4, v[68:69]
	v_add_u32_e32 v68, 0x121, v68
	v_add_co_u32_e32 v0, vcc, v66, v0
	v_addc_co_u32_e32 v1, vcc, v67, v1, vcc
	v_add_u32_e32 v2, 0x66, v112
	global_store_dwordx4 v[0:1], v[30:33], off
	v_lshlrev_b64 v[0:1], 4, v[68:69]
	v_mul_hi_u32 v3, v2, s1
	v_add_co_u32_e32 v0, vcc, v66, v0
	v_addc_co_u32_e32 v1, vcc, v67, v1, vcc
	v_fma_f64 v[4:5], v[4:5], 2.0, -v[48:49]
	global_store_dwordx4 v[0:1], v[52:55], off
	v_lshrrev_b32_e32 v0, 8, v3
	v_mul_u32_u24_e32 v1, 0x121, v0
	v_sub_u32_e32 v1, v2, v1
	v_mad_u32_u24 v68, v0, s2, v1
	v_lshlrev_b64 v[0:1], 4, v[68:69]
	v_add_u32_e32 v68, 0x121, v68
	v_add_co_u32_e32 v0, vcc, v66, v0
	v_addc_co_u32_e32 v1, vcc, v67, v1, vcc
	v_add_u32_e32 v2, 0x88, v112
	global_store_dwordx4 v[0:1], v[4:7], off
	v_lshlrev_b64 v[0:1], 4, v[68:69]
	v_mul_hi_u32 v3, v2, s1
	v_add_co_u32_e32 v0, vcc, v66, v0
	v_addc_co_u32_e32 v1, vcc, v67, v1, vcc
	v_fma_f64 v[38:39], v[42:43], 2.0, -v[22:23]
	v_fma_f64 v[42:43], v[34:35], 2.0, -v[46:47]
	global_store_dwordx4 v[0:1], v[48:51], off
	v_lshrrev_b32_e32 v0, 8, v3
	v_mul_u32_u24_e32 v1, 0x121, v0
	v_sub_u32_e32 v1, v2, v1
	v_mad_u32_u24 v68, v0, s2, v1
	v_add_f64 v[24:25], v[12:13], -v[24:25]
	v_lshlrev_b64 v[0:1], 4, v[68:69]
	v_add_u32_e32 v68, 0x121, v68
	v_add_co_u32_e32 v0, vcc, v66, v0
	v_addc_co_u32_e32 v1, vcc, v67, v1, vcc
	v_add_u32_e32 v2, 0xaa, v112
	global_store_dwordx4 v[0:1], v[40:43], off
	v_lshlrev_b64 v[0:1], 4, v[68:69]
	v_mul_hi_u32 v3, v2, s1
	v_add_co_u32_e32 v0, vcc, v66, v0
	v_addc_co_u32_e32 v1, vcc, v67, v1, vcc
	v_fma_f64 v[12:13], v[12:13], 2.0, -v[24:25]
	global_store_dwordx4 v[0:1], v[44:47], off
	v_lshrrev_b32_e32 v0, 8, v3
	v_mul_u32_u24_e32 v1, 0x121, v0
	v_sub_u32_e32 v1, v2, v1
	v_mad_u32_u24 v68, v0, s2, v1
	v_lshlrev_b64 v[0:1], 4, v[68:69]
	v_add_u32_e32 v68, 0x121, v68
	v_add_co_u32_e32 v0, vcc, v66, v0
	v_addc_co_u32_e32 v1, vcc, v67, v1, vcc
	v_add_u32_e32 v2, 0xcc, v112
	global_store_dwordx4 v[0:1], v[12:15], off
	v_lshlrev_b64 v[0:1], 4, v[68:69]
	v_mul_hi_u32 v3, v2, s1
	v_add_co_u32_e32 v0, vcc, v66, v0
	v_addc_co_u32_e32 v1, vcc, v67, v1, vcc
	global_store_dwordx4 v[0:1], v[24:27], off
	v_lshrrev_b32_e32 v0, 8, v3
	v_mul_u32_u24_e32 v1, 0x121, v0
	v_sub_u32_e32 v1, v2, v1
	v_mad_u32_u24 v68, v0, s2, v1
	v_lshlrev_b64 v[0:1], 4, v[68:69]
	v_add_u32_e32 v68, 0x121, v68
	v_add_co_u32_e32 v0, vcc, v66, v0
	v_addc_co_u32_e32 v1, vcc, v67, v1, vcc
	v_add_u32_e32 v2, 0xee, v112
	global_store_dwordx4 v[0:1], v[36:39], off
	v_lshlrev_b64 v[0:1], 4, v[68:69]
	v_mul_hi_u32 v3, v2, s1
	v_add_co_u32_e32 v0, vcc, v66, v0
	v_addc_co_u32_e32 v1, vcc, v67, v1, vcc
	v_fma_f64 v[8:9], v[8:9], 2.0, -v[16:17]
	global_store_dwordx4 v[0:1], v[20:23], off
	v_lshrrev_b32_e32 v0, 8, v3
	v_mul_u32_u24_e32 v1, 0x121, v0
	v_sub_u32_e32 v1, v2, v1
	v_mad_u32_u24 v68, v0, s2, v1
	v_lshlrev_b64 v[0:1], 4, v[68:69]
	v_add_u32_e32 v68, 0x121, v68
	v_add_co_u32_e32 v0, vcc, v66, v0
	v_addc_co_u32_e32 v1, vcc, v67, v1, vcc
	global_store_dwordx4 v[0:1], v[8:11], off
	v_lshlrev_b64 v[0:1], 4, v[68:69]
	v_add_co_u32_e32 v0, vcc, v66, v0
	v_addc_co_u32_e32 v1, vcc, v67, v1, vcc
	global_store_dwordx4 v[0:1], v[16:19], off
	v_add_u32_e32 v0, 0x110, v112
	v_cmp_gt_u32_e32 vcc, s0, v0
	s_and_b64 exec, exec, vcc
	s_cbranch_execz .LBB0_19
; %bb.18:
	v_mov_b32_e32 v57, v69
	v_lshlrev_b64 v[1:2], 4, v[56:57]
	v_mov_b32_e32 v3, s9
	v_add_co_u32_e32 v1, vcc, s8, v1
	v_addc_co_u32_e32 v2, vcc, v3, v2, vcc
	v_add_co_u32_e32 v1, vcc, 0x1000, v1
	v_addc_co_u32_e32 v2, vcc, 0, v2, vcc
	global_load_dwordx4 v[1:4], v[1:2], off offset:256
	v_add_u32_e32 v68, 0x231, v112
	v_lshlrev_b64 v[10:11], 4, v[68:69]
	v_add_co_u32_e32 v10, vcc, v66, v10
	v_addc_co_u32_e32 v11, vcc, v67, v11, vcc
	s_waitcnt vmcnt(0)
	v_mul_f64 v[5:6], v[60:61], v[3:4]
	v_mul_f64 v[3:4], v[82:83], v[3:4]
	v_fma_f64 v[5:6], v[82:83], v[1:2], v[5:6]
	v_fma_f64 v[7:8], v[60:61], v[1:2], -v[3:4]
	v_mov_b32_e32 v1, v69
	v_lshlrev_b64 v[0:1], 4, v[0:1]
	v_add_co_u32_e32 v0, vcc, v66, v0
	v_addc_co_u32_e32 v1, vcc, v67, v1, vcc
	v_add_f64 v[2:3], v[76:77], -v[5:6]
	v_add_f64 v[4:5], v[58:59], -v[7:8]
	v_fma_f64 v[6:7], v[76:77], 2.0, -v[2:3]
	v_fma_f64 v[8:9], v[58:59], 2.0, -v[4:5]
	global_store_dwordx4 v[0:1], v[6:9], off
	global_store_dwordx4 v[10:11], v[2:5], off
.LBB0_19:
	s_endpgm
	.section	.rodata,"a",@progbits
	.p2align	6, 0x0
	.amdhsa_kernel fft_rtc_back_len578_factors_17_17_2_wgs_238_tpt_34_halfLds_dp_op_CI_CI_unitstride_sbrr_dirReg
		.amdhsa_group_segment_fixed_size 0
		.amdhsa_private_segment_fixed_size 0
		.amdhsa_kernarg_size 104
		.amdhsa_user_sgpr_count 6
		.amdhsa_user_sgpr_private_segment_buffer 1
		.amdhsa_user_sgpr_dispatch_ptr 0
		.amdhsa_user_sgpr_queue_ptr 0
		.amdhsa_user_sgpr_kernarg_segment_ptr 1
		.amdhsa_user_sgpr_dispatch_id 0
		.amdhsa_user_sgpr_flat_scratch_init 0
		.amdhsa_user_sgpr_private_segment_size 0
		.amdhsa_uses_dynamic_stack 0
		.amdhsa_system_sgpr_private_segment_wavefront_offset 0
		.amdhsa_system_sgpr_workgroup_id_x 1
		.amdhsa_system_sgpr_workgroup_id_y 0
		.amdhsa_system_sgpr_workgroup_id_z 0
		.amdhsa_system_sgpr_workgroup_info 0
		.amdhsa_system_vgpr_workitem_id 0
		.amdhsa_next_free_vgpr 249
		.amdhsa_next_free_sgpr 60
		.amdhsa_reserve_vcc 1
		.amdhsa_reserve_flat_scratch 0
		.amdhsa_float_round_mode_32 0
		.amdhsa_float_round_mode_16_64 0
		.amdhsa_float_denorm_mode_32 3
		.amdhsa_float_denorm_mode_16_64 3
		.amdhsa_dx10_clamp 1
		.amdhsa_ieee_mode 1
		.amdhsa_fp16_overflow 0
		.amdhsa_exception_fp_ieee_invalid_op 0
		.amdhsa_exception_fp_denorm_src 0
		.amdhsa_exception_fp_ieee_div_zero 0
		.amdhsa_exception_fp_ieee_overflow 0
		.amdhsa_exception_fp_ieee_underflow 0
		.amdhsa_exception_fp_ieee_inexact 0
		.amdhsa_exception_int_div_zero 0
	.end_amdhsa_kernel
	.text
.Lfunc_end0:
	.size	fft_rtc_back_len578_factors_17_17_2_wgs_238_tpt_34_halfLds_dp_op_CI_CI_unitstride_sbrr_dirReg, .Lfunc_end0-fft_rtc_back_len578_factors_17_17_2_wgs_238_tpt_34_halfLds_dp_op_CI_CI_unitstride_sbrr_dirReg
                                        ; -- End function
	.section	.AMDGPU.csdata,"",@progbits
; Kernel info:
; codeLenInByte = 16376
; NumSgprs: 64
; NumVgprs: 249
; ScratchSize: 0
; MemoryBound: 1
; FloatMode: 240
; IeeeMode: 1
; LDSByteSize: 0 bytes/workgroup (compile time only)
; SGPRBlocks: 7
; VGPRBlocks: 62
; NumSGPRsForWavesPerEU: 64
; NumVGPRsForWavesPerEU: 249
; Occupancy: 1
; WaveLimiterHint : 1
; COMPUTE_PGM_RSRC2:SCRATCH_EN: 0
; COMPUTE_PGM_RSRC2:USER_SGPR: 6
; COMPUTE_PGM_RSRC2:TRAP_HANDLER: 0
; COMPUTE_PGM_RSRC2:TGID_X_EN: 1
; COMPUTE_PGM_RSRC2:TGID_Y_EN: 0
; COMPUTE_PGM_RSRC2:TGID_Z_EN: 0
; COMPUTE_PGM_RSRC2:TIDIG_COMP_CNT: 0
	.type	__hip_cuid_1220e4dabf574152,@object ; @__hip_cuid_1220e4dabf574152
	.section	.bss,"aw",@nobits
	.globl	__hip_cuid_1220e4dabf574152
__hip_cuid_1220e4dabf574152:
	.byte	0                               ; 0x0
	.size	__hip_cuid_1220e4dabf574152, 1

	.ident	"AMD clang version 19.0.0git (https://github.com/RadeonOpenCompute/llvm-project roc-6.4.0 25133 c7fe45cf4b819c5991fe208aaa96edf142730f1d)"
	.section	".note.GNU-stack","",@progbits
	.addrsig
	.addrsig_sym __hip_cuid_1220e4dabf574152
	.amdgpu_metadata
---
amdhsa.kernels:
  - .args:
      - .actual_access:  read_only
        .address_space:  global
        .offset:         0
        .size:           8
        .value_kind:     global_buffer
      - .offset:         8
        .size:           8
        .value_kind:     by_value
      - .actual_access:  read_only
        .address_space:  global
        .offset:         16
        .size:           8
        .value_kind:     global_buffer
      - .actual_access:  read_only
        .address_space:  global
        .offset:         24
        .size:           8
        .value_kind:     global_buffer
      - .actual_access:  read_only
        .address_space:  global
        .offset:         32
        .size:           8
        .value_kind:     global_buffer
      - .offset:         40
        .size:           8
        .value_kind:     by_value
      - .actual_access:  read_only
        .address_space:  global
        .offset:         48
        .size:           8
        .value_kind:     global_buffer
      - .actual_access:  read_only
        .address_space:  global
        .offset:         56
        .size:           8
        .value_kind:     global_buffer
      - .offset:         64
        .size:           4
        .value_kind:     by_value
      - .actual_access:  read_only
        .address_space:  global
        .offset:         72
        .size:           8
        .value_kind:     global_buffer
      - .actual_access:  read_only
        .address_space:  global
        .offset:         80
        .size:           8
        .value_kind:     global_buffer
      - .actual_access:  read_only
        .address_space:  global
        .offset:         88
        .size:           8
        .value_kind:     global_buffer
      - .actual_access:  write_only
        .address_space:  global
        .offset:         96
        .size:           8
        .value_kind:     global_buffer
    .group_segment_fixed_size: 0
    .kernarg_segment_align: 8
    .kernarg_segment_size: 104
    .language:       OpenCL C
    .language_version:
      - 2
      - 0
    .max_flat_workgroup_size: 238
    .name:           fft_rtc_back_len578_factors_17_17_2_wgs_238_tpt_34_halfLds_dp_op_CI_CI_unitstride_sbrr_dirReg
    .private_segment_fixed_size: 0
    .sgpr_count:     64
    .sgpr_spill_count: 0
    .symbol:         fft_rtc_back_len578_factors_17_17_2_wgs_238_tpt_34_halfLds_dp_op_CI_CI_unitstride_sbrr_dirReg.kd
    .uniform_work_group_size: 1
    .uses_dynamic_stack: false
    .vgpr_count:     249
    .vgpr_spill_count: 0
    .wavefront_size: 64
amdhsa.target:   amdgcn-amd-amdhsa--gfx906
amdhsa.version:
  - 1
  - 2
...

	.end_amdgpu_metadata
